;; amdgpu-corpus repo=ROCm/rocSPARSE kind=compiled arch=gfx1030 opt=O3
	.amdgcn_target "amdgcn-amd-amdhsa--gfx1030"
	.amdhsa_code_object_version 6
	.section	.text._ZN9rocsparseL19nnz_compress_kernelILi1024ELi512ELi2EfEEvi21rocsparse_index_base_PKT2_PKiPiS2_,"axG",@progbits,_ZN9rocsparseL19nnz_compress_kernelILi1024ELi512ELi2EfEEvi21rocsparse_index_base_PKT2_PKiPiS2_,comdat
	.globl	_ZN9rocsparseL19nnz_compress_kernelILi1024ELi512ELi2EfEEvi21rocsparse_index_base_PKT2_PKiPiS2_ ; -- Begin function _ZN9rocsparseL19nnz_compress_kernelILi1024ELi512ELi2EfEEvi21rocsparse_index_base_PKT2_PKiPiS2_
	.p2align	8
	.type	_ZN9rocsparseL19nnz_compress_kernelILi1024ELi512ELi2EfEEvi21rocsparse_index_base_PKT2_PKiPiS2_,@function
_ZN9rocsparseL19nnz_compress_kernelILi1024ELi512ELi2EfEEvi21rocsparse_index_base_PKT2_PKiPiS2_: ; @_ZN9rocsparseL19nnz_compress_kernelILi1024ELi512ELi2EfEEvi21rocsparse_index_base_PKT2_PKiPiS2_
; %bb.0:
	s_load_dwordx2 s[8:9], s[4:5], 0x0
	v_lshrrev_b32_e32 v1, 1, v0
	s_mov_b32 s0, exec_lo
	v_lshl_or_b32 v1, s6, 9, v1
	s_waitcnt lgkmcnt(0)
	v_cmpx_gt_i32_e64 s8, v1
	s_cbranch_execz .LBB0_6
; %bb.1:
	s_load_dwordx4 s[0:3], s[4:5], 0x10
	v_ashrrev_i32_e32 v2, 31, v1
	v_and_b32_e32 v0, 1, v0
	v_mov_b32_e32 v6, 0
	s_mov_b32 s6, exec_lo
	v_lshlrev_b64 v[1:2], 2, v[1:2]
	v_subrev_nc_u32_e32 v5, s9, v0
	s_waitcnt lgkmcnt(0)
	v_add_co_u32 v3, vcc_lo, s0, v1
	v_add_co_ci_u32_e64 v4, null, s1, v2, vcc_lo
	global_load_dwordx2 v[3:4], v[3:4], off
	s_waitcnt vmcnt(0)
	v_subrev_nc_u32_e32 v0, s9, v4
	v_add_nc_u32_e32 v3, v3, v5
	v_cmpx_lt_i32_e64 v3, v0
	s_cbranch_execz .LBB0_5
; %bb.2:
	s_clause 0x1
	s_load_dwordx2 s[0:1], s[4:5], 0x8
	s_load_dword s4, s[4:5], 0x20
	v_ashrrev_i32_e32 v4, 31, v3
	v_mov_b32_e32 v6, 0
	s_mov_b32 s5, 0
	v_lshlrev_b64 v[4:5], 2, v[3:4]
	s_waitcnt lgkmcnt(0)
	v_add_co_u32 v4, vcc_lo, s0, v4
	v_add_co_ci_u32_e64 v5, null, s1, v5, vcc_lo
	.p2align	6
.LBB0_3:                                ; =>This Inner Loop Header: Depth=1
	global_load_dword v7, v[4:5], off
	v_add_nc_u32_e32 v3, 2, v3
	s_waitcnt vmcnt(0)
	v_cmp_gt_f32_e32 vcc_lo, 0, v7
	v_cndmask_b32_e64 v7, v7, -v7, vcc_lo
	v_add_co_u32 v4, vcc_lo, v4, 8
	v_add_co_ci_u32_e64 v5, null, 0, v5, vcc_lo
	v_cmp_lt_f32_e64 s0, s4, v7
	v_cmp_lt_f32_e64 s1, 0x800000, v7
	v_cmp_ge_i32_e32 vcc_lo, v3, v0
	s_and_b32 s0, s0, s1
	s_or_b32 s5, vcc_lo, s5
	v_add_co_ci_u32_e64 v6, null, 0, v6, s0
	s_andn2_b32 exec_lo, exec_lo, s5
	s_cbranch_execnz .LBB0_3
; %bb.4:
	s_or_b32 exec_lo, exec_lo, s5
.LBB0_5:
	s_or_b32 exec_lo, exec_lo, s6
	v_mbcnt_lo_u32_b32 v0, -1, 0
	v_xor_b32_e32 v3, 1, v0
	v_cmp_gt_i32_e32 vcc_lo, 32, v3
	v_cndmask_b32_e32 v3, v0, v3, vcc_lo
	v_lshl_or_b32 v0, v0, 2, 4
	v_lshlrev_b32_e32 v3, 2, v3
	ds_bpermute_b32 v3, v3, v6
	s_waitcnt lgkmcnt(0)
	v_add_nc_u32_e32 v3, v3, v6
	ds_bpermute_b32 v3, v0, v3
	v_add_co_u32 v0, vcc_lo, s2, v1
	v_add_co_ci_u32_e64 v1, null, s3, v2, vcc_lo
	s_waitcnt lgkmcnt(0)
	global_store_dword v[0:1], v3, off
.LBB0_6:
	s_endpgm
	.section	.rodata,"a",@progbits
	.p2align	6, 0x0
	.amdhsa_kernel _ZN9rocsparseL19nnz_compress_kernelILi1024ELi512ELi2EfEEvi21rocsparse_index_base_PKT2_PKiPiS2_
		.amdhsa_group_segment_fixed_size 0
		.amdhsa_private_segment_fixed_size 0
		.amdhsa_kernarg_size 36
		.amdhsa_user_sgpr_count 6
		.amdhsa_user_sgpr_private_segment_buffer 1
		.amdhsa_user_sgpr_dispatch_ptr 0
		.amdhsa_user_sgpr_queue_ptr 0
		.amdhsa_user_sgpr_kernarg_segment_ptr 1
		.amdhsa_user_sgpr_dispatch_id 0
		.amdhsa_user_sgpr_flat_scratch_init 0
		.amdhsa_user_sgpr_private_segment_size 0
		.amdhsa_wavefront_size32 1
		.amdhsa_uses_dynamic_stack 0
		.amdhsa_system_sgpr_private_segment_wavefront_offset 0
		.amdhsa_system_sgpr_workgroup_id_x 1
		.amdhsa_system_sgpr_workgroup_id_y 0
		.amdhsa_system_sgpr_workgroup_id_z 0
		.amdhsa_system_sgpr_workgroup_info 0
		.amdhsa_system_vgpr_workitem_id 0
		.amdhsa_next_free_vgpr 8
		.amdhsa_next_free_sgpr 10
		.amdhsa_reserve_vcc 1
		.amdhsa_reserve_flat_scratch 0
		.amdhsa_float_round_mode_32 0
		.amdhsa_float_round_mode_16_64 0
		.amdhsa_float_denorm_mode_32 3
		.amdhsa_float_denorm_mode_16_64 3
		.amdhsa_dx10_clamp 1
		.amdhsa_ieee_mode 1
		.amdhsa_fp16_overflow 0
		.amdhsa_workgroup_processor_mode 1
		.amdhsa_memory_ordered 1
		.amdhsa_forward_progress 1
		.amdhsa_shared_vgpr_count 0
		.amdhsa_exception_fp_ieee_invalid_op 0
		.amdhsa_exception_fp_denorm_src 0
		.amdhsa_exception_fp_ieee_div_zero 0
		.amdhsa_exception_fp_ieee_overflow 0
		.amdhsa_exception_fp_ieee_underflow 0
		.amdhsa_exception_fp_ieee_inexact 0
		.amdhsa_exception_int_div_zero 0
	.end_amdhsa_kernel
	.section	.text._ZN9rocsparseL19nnz_compress_kernelILi1024ELi512ELi2EfEEvi21rocsparse_index_base_PKT2_PKiPiS2_,"axG",@progbits,_ZN9rocsparseL19nnz_compress_kernelILi1024ELi512ELi2EfEEvi21rocsparse_index_base_PKT2_PKiPiS2_,comdat
.Lfunc_end0:
	.size	_ZN9rocsparseL19nnz_compress_kernelILi1024ELi512ELi2EfEEvi21rocsparse_index_base_PKT2_PKiPiS2_, .Lfunc_end0-_ZN9rocsparseL19nnz_compress_kernelILi1024ELi512ELi2EfEEvi21rocsparse_index_base_PKT2_PKiPiS2_
                                        ; -- End function
	.set _ZN9rocsparseL19nnz_compress_kernelILi1024ELi512ELi2EfEEvi21rocsparse_index_base_PKT2_PKiPiS2_.num_vgpr, 8
	.set _ZN9rocsparseL19nnz_compress_kernelILi1024ELi512ELi2EfEEvi21rocsparse_index_base_PKT2_PKiPiS2_.num_agpr, 0
	.set _ZN9rocsparseL19nnz_compress_kernelILi1024ELi512ELi2EfEEvi21rocsparse_index_base_PKT2_PKiPiS2_.numbered_sgpr, 10
	.set _ZN9rocsparseL19nnz_compress_kernelILi1024ELi512ELi2EfEEvi21rocsparse_index_base_PKT2_PKiPiS2_.num_named_barrier, 0
	.set _ZN9rocsparseL19nnz_compress_kernelILi1024ELi512ELi2EfEEvi21rocsparse_index_base_PKT2_PKiPiS2_.private_seg_size, 0
	.set _ZN9rocsparseL19nnz_compress_kernelILi1024ELi512ELi2EfEEvi21rocsparse_index_base_PKT2_PKiPiS2_.uses_vcc, 1
	.set _ZN9rocsparseL19nnz_compress_kernelILi1024ELi512ELi2EfEEvi21rocsparse_index_base_PKT2_PKiPiS2_.uses_flat_scratch, 0
	.set _ZN9rocsparseL19nnz_compress_kernelILi1024ELi512ELi2EfEEvi21rocsparse_index_base_PKT2_PKiPiS2_.has_dyn_sized_stack, 0
	.set _ZN9rocsparseL19nnz_compress_kernelILi1024ELi512ELi2EfEEvi21rocsparse_index_base_PKT2_PKiPiS2_.has_recursion, 0
	.set _ZN9rocsparseL19nnz_compress_kernelILi1024ELi512ELi2EfEEvi21rocsparse_index_base_PKT2_PKiPiS2_.has_indirect_call, 0
	.section	.AMDGPU.csdata,"",@progbits
; Kernel info:
; codeLenInByte = 380
; TotalNumSgprs: 12
; NumVgprs: 8
; ScratchSize: 0
; MemoryBound: 0
; FloatMode: 240
; IeeeMode: 1
; LDSByteSize: 0 bytes/workgroup (compile time only)
; SGPRBlocks: 0
; VGPRBlocks: 0
; NumSGPRsForWavesPerEU: 12
; NumVGPRsForWavesPerEU: 8
; Occupancy: 16
; WaveLimiterHint : 0
; COMPUTE_PGM_RSRC2:SCRATCH_EN: 0
; COMPUTE_PGM_RSRC2:USER_SGPR: 6
; COMPUTE_PGM_RSRC2:TRAP_HANDLER: 0
; COMPUTE_PGM_RSRC2:TGID_X_EN: 1
; COMPUTE_PGM_RSRC2:TGID_Y_EN: 0
; COMPUTE_PGM_RSRC2:TGID_Z_EN: 0
; COMPUTE_PGM_RSRC2:TIDIG_COMP_CNT: 0
	.section	.text._ZN9rocsparseL19nnz_compress_kernelILi1024ELi256ELi4EfEEvi21rocsparse_index_base_PKT2_PKiPiS2_,"axG",@progbits,_ZN9rocsparseL19nnz_compress_kernelILi1024ELi256ELi4EfEEvi21rocsparse_index_base_PKT2_PKiPiS2_,comdat
	.globl	_ZN9rocsparseL19nnz_compress_kernelILi1024ELi256ELi4EfEEvi21rocsparse_index_base_PKT2_PKiPiS2_ ; -- Begin function _ZN9rocsparseL19nnz_compress_kernelILi1024ELi256ELi4EfEEvi21rocsparse_index_base_PKT2_PKiPiS2_
	.p2align	8
	.type	_ZN9rocsparseL19nnz_compress_kernelILi1024ELi256ELi4EfEEvi21rocsparse_index_base_PKT2_PKiPiS2_,@function
_ZN9rocsparseL19nnz_compress_kernelILi1024ELi256ELi4EfEEvi21rocsparse_index_base_PKT2_PKiPiS2_: ; @_ZN9rocsparseL19nnz_compress_kernelILi1024ELi256ELi4EfEEvi21rocsparse_index_base_PKT2_PKiPiS2_
; %bb.0:
	s_load_dwordx2 s[8:9], s[4:5], 0x0
	v_lshrrev_b32_e32 v1, 2, v0
	s_mov_b32 s0, exec_lo
	v_lshl_or_b32 v1, s6, 8, v1
	s_waitcnt lgkmcnt(0)
	v_cmpx_gt_i32_e64 s8, v1
	s_cbranch_execz .LBB1_6
; %bb.1:
	s_load_dwordx4 s[0:3], s[4:5], 0x10
	v_ashrrev_i32_e32 v2, 31, v1
	v_and_b32_e32 v0, 3, v0
	s_mov_b32 s6, exec_lo
	v_lshlrev_b64 v[1:2], 2, v[1:2]
	v_subrev_nc_u32_e32 v0, s9, v0
	s_waitcnt lgkmcnt(0)
	v_add_co_u32 v3, vcc_lo, s0, v1
	v_add_co_ci_u32_e64 v4, null, s1, v2, vcc_lo
	global_load_dwordx2 v[3:4], v[3:4], off
	s_waitcnt vmcnt(0)
	v_subrev_nc_u32_e32 v6, s9, v4
	v_add_nc_u32_e32 v3, v3, v0
	v_mov_b32_e32 v0, 0
	v_cmpx_lt_i32_e64 v3, v6
	s_cbranch_execz .LBB1_5
; %bb.2:
	s_clause 0x1
	s_load_dwordx2 s[0:1], s[4:5], 0x8
	s_load_dword s4, s[4:5], 0x20
	v_ashrrev_i32_e32 v4, 31, v3
	v_mov_b32_e32 v0, 0
	s_mov_b32 s5, 0
	v_lshlrev_b64 v[4:5], 2, v[3:4]
	s_waitcnt lgkmcnt(0)
	v_add_co_u32 v4, vcc_lo, s0, v4
	v_add_co_ci_u32_e64 v5, null, s1, v5, vcc_lo
	.p2align	6
.LBB1_3:                                ; =>This Inner Loop Header: Depth=1
	global_load_dword v7, v[4:5], off
	v_add_nc_u32_e32 v3, 4, v3
	s_waitcnt vmcnt(0)
	v_cmp_gt_f32_e32 vcc_lo, 0, v7
	v_cndmask_b32_e64 v7, v7, -v7, vcc_lo
	v_add_co_u32 v4, vcc_lo, v4, 16
	v_add_co_ci_u32_e64 v5, null, 0, v5, vcc_lo
	v_cmp_lt_f32_e64 s0, s4, v7
	v_cmp_lt_f32_e64 s1, 0x800000, v7
	v_cmp_ge_i32_e32 vcc_lo, v3, v6
	s_and_b32 s0, s0, s1
	s_or_b32 s5, vcc_lo, s5
	v_add_co_ci_u32_e64 v0, null, 0, v0, s0
	s_andn2_b32 exec_lo, exec_lo, s5
	s_cbranch_execnz .LBB1_3
; %bb.4:
	s_or_b32 exec_lo, exec_lo, s5
.LBB1_5:
	s_or_b32 exec_lo, exec_lo, s6
	v_mbcnt_lo_u32_b32 v3, -1, 0
	v_xor_b32_e32 v4, 2, v3
	v_xor_b32_e32 v5, 1, v3
	v_cmp_gt_i32_e32 vcc_lo, 32, v4
	v_cndmask_b32_e32 v4, v3, v4, vcc_lo
	v_cmp_gt_i32_e32 vcc_lo, 32, v5
	v_lshlrev_b32_e32 v4, 2, v4
	v_cndmask_b32_e32 v5, v3, v5, vcc_lo
	v_lshl_or_b32 v3, v3, 2, 12
	ds_bpermute_b32 v4, v4, v0
	v_lshlrev_b32_e32 v5, 2, v5
	s_waitcnt lgkmcnt(0)
	v_add_nc_u32_e32 v0, v4, v0
	ds_bpermute_b32 v4, v5, v0
	s_waitcnt lgkmcnt(0)
	v_add_nc_u32_e32 v0, v4, v0
	ds_bpermute_b32 v3, v3, v0
	v_add_co_u32 v0, vcc_lo, s2, v1
	v_add_co_ci_u32_e64 v1, null, s3, v2, vcc_lo
	s_waitcnt lgkmcnt(0)
	global_store_dword v[0:1], v3, off
.LBB1_6:
	s_endpgm
	.section	.rodata,"a",@progbits
	.p2align	6, 0x0
	.amdhsa_kernel _ZN9rocsparseL19nnz_compress_kernelILi1024ELi256ELi4EfEEvi21rocsparse_index_base_PKT2_PKiPiS2_
		.amdhsa_group_segment_fixed_size 0
		.amdhsa_private_segment_fixed_size 0
		.amdhsa_kernarg_size 36
		.amdhsa_user_sgpr_count 6
		.amdhsa_user_sgpr_private_segment_buffer 1
		.amdhsa_user_sgpr_dispatch_ptr 0
		.amdhsa_user_sgpr_queue_ptr 0
		.amdhsa_user_sgpr_kernarg_segment_ptr 1
		.amdhsa_user_sgpr_dispatch_id 0
		.amdhsa_user_sgpr_flat_scratch_init 0
		.amdhsa_user_sgpr_private_segment_size 0
		.amdhsa_wavefront_size32 1
		.amdhsa_uses_dynamic_stack 0
		.amdhsa_system_sgpr_private_segment_wavefront_offset 0
		.amdhsa_system_sgpr_workgroup_id_x 1
		.amdhsa_system_sgpr_workgroup_id_y 0
		.amdhsa_system_sgpr_workgroup_id_z 0
		.amdhsa_system_sgpr_workgroup_info 0
		.amdhsa_system_vgpr_workitem_id 0
		.amdhsa_next_free_vgpr 8
		.amdhsa_next_free_sgpr 10
		.amdhsa_reserve_vcc 1
		.amdhsa_reserve_flat_scratch 0
		.amdhsa_float_round_mode_32 0
		.amdhsa_float_round_mode_16_64 0
		.amdhsa_float_denorm_mode_32 3
		.amdhsa_float_denorm_mode_16_64 3
		.amdhsa_dx10_clamp 1
		.amdhsa_ieee_mode 1
		.amdhsa_fp16_overflow 0
		.amdhsa_workgroup_processor_mode 1
		.amdhsa_memory_ordered 1
		.amdhsa_forward_progress 1
		.amdhsa_shared_vgpr_count 0
		.amdhsa_exception_fp_ieee_invalid_op 0
		.amdhsa_exception_fp_denorm_src 0
		.amdhsa_exception_fp_ieee_div_zero 0
		.amdhsa_exception_fp_ieee_overflow 0
		.amdhsa_exception_fp_ieee_underflow 0
		.amdhsa_exception_fp_ieee_inexact 0
		.amdhsa_exception_int_div_zero 0
	.end_amdhsa_kernel
	.section	.text._ZN9rocsparseL19nnz_compress_kernelILi1024ELi256ELi4EfEEvi21rocsparse_index_base_PKT2_PKiPiS2_,"axG",@progbits,_ZN9rocsparseL19nnz_compress_kernelILi1024ELi256ELi4EfEEvi21rocsparse_index_base_PKT2_PKiPiS2_,comdat
.Lfunc_end1:
	.size	_ZN9rocsparseL19nnz_compress_kernelILi1024ELi256ELi4EfEEvi21rocsparse_index_base_PKT2_PKiPiS2_, .Lfunc_end1-_ZN9rocsparseL19nnz_compress_kernelILi1024ELi256ELi4EfEEvi21rocsparse_index_base_PKT2_PKiPiS2_
                                        ; -- End function
	.set _ZN9rocsparseL19nnz_compress_kernelILi1024ELi256ELi4EfEEvi21rocsparse_index_base_PKT2_PKiPiS2_.num_vgpr, 8
	.set _ZN9rocsparseL19nnz_compress_kernelILi1024ELi256ELi4EfEEvi21rocsparse_index_base_PKT2_PKiPiS2_.num_agpr, 0
	.set _ZN9rocsparseL19nnz_compress_kernelILi1024ELi256ELi4EfEEvi21rocsparse_index_base_PKT2_PKiPiS2_.numbered_sgpr, 10
	.set _ZN9rocsparseL19nnz_compress_kernelILi1024ELi256ELi4EfEEvi21rocsparse_index_base_PKT2_PKiPiS2_.num_named_barrier, 0
	.set _ZN9rocsparseL19nnz_compress_kernelILi1024ELi256ELi4EfEEvi21rocsparse_index_base_PKT2_PKiPiS2_.private_seg_size, 0
	.set _ZN9rocsparseL19nnz_compress_kernelILi1024ELi256ELi4EfEEvi21rocsparse_index_base_PKT2_PKiPiS2_.uses_vcc, 1
	.set _ZN9rocsparseL19nnz_compress_kernelILi1024ELi256ELi4EfEEvi21rocsparse_index_base_PKT2_PKiPiS2_.uses_flat_scratch, 0
	.set _ZN9rocsparseL19nnz_compress_kernelILi1024ELi256ELi4EfEEvi21rocsparse_index_base_PKT2_PKiPiS2_.has_dyn_sized_stack, 0
	.set _ZN9rocsparseL19nnz_compress_kernelILi1024ELi256ELi4EfEEvi21rocsparse_index_base_PKT2_PKiPiS2_.has_recursion, 0
	.set _ZN9rocsparseL19nnz_compress_kernelILi1024ELi256ELi4EfEEvi21rocsparse_index_base_PKT2_PKiPiS2_.has_indirect_call, 0
	.section	.AMDGPU.csdata,"",@progbits
; Kernel info:
; codeLenInByte = 412
; TotalNumSgprs: 12
; NumVgprs: 8
; ScratchSize: 0
; MemoryBound: 0
; FloatMode: 240
; IeeeMode: 1
; LDSByteSize: 0 bytes/workgroup (compile time only)
; SGPRBlocks: 0
; VGPRBlocks: 0
; NumSGPRsForWavesPerEU: 12
; NumVGPRsForWavesPerEU: 8
; Occupancy: 16
; WaveLimiterHint : 0
; COMPUTE_PGM_RSRC2:SCRATCH_EN: 0
; COMPUTE_PGM_RSRC2:USER_SGPR: 6
; COMPUTE_PGM_RSRC2:TRAP_HANDLER: 0
; COMPUTE_PGM_RSRC2:TGID_X_EN: 1
; COMPUTE_PGM_RSRC2:TGID_Y_EN: 0
; COMPUTE_PGM_RSRC2:TGID_Z_EN: 0
; COMPUTE_PGM_RSRC2:TIDIG_COMP_CNT: 0
	.section	.text._ZN9rocsparseL19nnz_compress_kernelILi1024ELi128ELi8EfEEvi21rocsparse_index_base_PKT2_PKiPiS2_,"axG",@progbits,_ZN9rocsparseL19nnz_compress_kernelILi1024ELi128ELi8EfEEvi21rocsparse_index_base_PKT2_PKiPiS2_,comdat
	.globl	_ZN9rocsparseL19nnz_compress_kernelILi1024ELi128ELi8EfEEvi21rocsparse_index_base_PKT2_PKiPiS2_ ; -- Begin function _ZN9rocsparseL19nnz_compress_kernelILi1024ELi128ELi8EfEEvi21rocsparse_index_base_PKT2_PKiPiS2_
	.p2align	8
	.type	_ZN9rocsparseL19nnz_compress_kernelILi1024ELi128ELi8EfEEvi21rocsparse_index_base_PKT2_PKiPiS2_,@function
_ZN9rocsparseL19nnz_compress_kernelILi1024ELi128ELi8EfEEvi21rocsparse_index_base_PKT2_PKiPiS2_: ; @_ZN9rocsparseL19nnz_compress_kernelILi1024ELi128ELi8EfEEvi21rocsparse_index_base_PKT2_PKiPiS2_
; %bb.0:
	s_load_dwordx2 s[8:9], s[4:5], 0x0
	v_lshrrev_b32_e32 v1, 3, v0
	s_mov_b32 s0, exec_lo
	v_lshl_or_b32 v1, s6, 7, v1
	s_waitcnt lgkmcnt(0)
	v_cmpx_gt_i32_e64 s8, v1
	s_cbranch_execz .LBB2_6
; %bb.1:
	s_load_dwordx4 s[0:3], s[4:5], 0x10
	v_ashrrev_i32_e32 v2, 31, v1
	v_and_b32_e32 v0, 7, v0
	s_mov_b32 s6, exec_lo
	v_lshlrev_b64 v[1:2], 2, v[1:2]
	v_subrev_nc_u32_e32 v0, s9, v0
	s_waitcnt lgkmcnt(0)
	v_add_co_u32 v3, vcc_lo, s0, v1
	v_add_co_ci_u32_e64 v4, null, s1, v2, vcc_lo
	global_load_dwordx2 v[3:4], v[3:4], off
	s_waitcnt vmcnt(0)
	v_subrev_nc_u32_e32 v6, s9, v4
	v_add_nc_u32_e32 v3, v3, v0
	v_mov_b32_e32 v0, 0
	v_cmpx_lt_i32_e64 v3, v6
	s_cbranch_execz .LBB2_5
; %bb.2:
	s_clause 0x1
	s_load_dwordx2 s[0:1], s[4:5], 0x8
	s_load_dword s4, s[4:5], 0x20
	v_ashrrev_i32_e32 v4, 31, v3
	v_mov_b32_e32 v0, 0
	s_mov_b32 s5, 0
	v_lshlrev_b64 v[4:5], 2, v[3:4]
	s_waitcnt lgkmcnt(0)
	v_add_co_u32 v4, vcc_lo, s0, v4
	v_add_co_ci_u32_e64 v5, null, s1, v5, vcc_lo
	.p2align	6
.LBB2_3:                                ; =>This Inner Loop Header: Depth=1
	global_load_dword v7, v[4:5], off
	v_add_nc_u32_e32 v3, 8, v3
	s_waitcnt vmcnt(0)
	v_cmp_gt_f32_e32 vcc_lo, 0, v7
	v_cndmask_b32_e64 v7, v7, -v7, vcc_lo
	v_add_co_u32 v4, vcc_lo, v4, 32
	v_add_co_ci_u32_e64 v5, null, 0, v5, vcc_lo
	v_cmp_lt_f32_e64 s0, s4, v7
	v_cmp_lt_f32_e64 s1, 0x800000, v7
	v_cmp_ge_i32_e32 vcc_lo, v3, v6
	s_and_b32 s0, s0, s1
	s_or_b32 s5, vcc_lo, s5
	v_add_co_ci_u32_e64 v0, null, 0, v0, s0
	s_andn2_b32 exec_lo, exec_lo, s5
	s_cbranch_execnz .LBB2_3
; %bb.4:
	s_or_b32 exec_lo, exec_lo, s5
.LBB2_5:
	s_or_b32 exec_lo, exec_lo, s6
	v_mbcnt_lo_u32_b32 v3, -1, 0
	v_xor_b32_e32 v4, 4, v3
	v_xor_b32_e32 v5, 2, v3
	v_cmp_gt_i32_e32 vcc_lo, 32, v4
	v_cndmask_b32_e32 v4, v3, v4, vcc_lo
	v_cmp_gt_i32_e32 vcc_lo, 32, v5
	v_lshlrev_b32_e32 v4, 2, v4
	v_cndmask_b32_e32 v5, v3, v5, vcc_lo
	ds_bpermute_b32 v4, v4, v0
	v_lshlrev_b32_e32 v5, 2, v5
	s_waitcnt lgkmcnt(0)
	v_add_nc_u32_e32 v0, v4, v0
	ds_bpermute_b32 v4, v5, v0
	v_xor_b32_e32 v5, 1, v3
	v_cmp_gt_i32_e32 vcc_lo, 32, v5
	v_cndmask_b32_e32 v5, v3, v5, vcc_lo
	v_lshl_or_b32 v3, v3, 2, 28
	v_lshlrev_b32_e32 v5, 2, v5
	s_waitcnt lgkmcnt(0)
	v_add_nc_u32_e32 v0, v4, v0
	ds_bpermute_b32 v4, v5, v0
	s_waitcnt lgkmcnt(0)
	v_add_nc_u32_e32 v0, v4, v0
	ds_bpermute_b32 v3, v3, v0
	v_add_co_u32 v0, vcc_lo, s2, v1
	v_add_co_ci_u32_e64 v1, null, s3, v2, vcc_lo
	s_waitcnt lgkmcnt(0)
	global_store_dword v[0:1], v3, off
.LBB2_6:
	s_endpgm
	.section	.rodata,"a",@progbits
	.p2align	6, 0x0
	.amdhsa_kernel _ZN9rocsparseL19nnz_compress_kernelILi1024ELi128ELi8EfEEvi21rocsparse_index_base_PKT2_PKiPiS2_
		.amdhsa_group_segment_fixed_size 0
		.amdhsa_private_segment_fixed_size 0
		.amdhsa_kernarg_size 36
		.amdhsa_user_sgpr_count 6
		.amdhsa_user_sgpr_private_segment_buffer 1
		.amdhsa_user_sgpr_dispatch_ptr 0
		.amdhsa_user_sgpr_queue_ptr 0
		.amdhsa_user_sgpr_kernarg_segment_ptr 1
		.amdhsa_user_sgpr_dispatch_id 0
		.amdhsa_user_sgpr_flat_scratch_init 0
		.amdhsa_user_sgpr_private_segment_size 0
		.amdhsa_wavefront_size32 1
		.amdhsa_uses_dynamic_stack 0
		.amdhsa_system_sgpr_private_segment_wavefront_offset 0
		.amdhsa_system_sgpr_workgroup_id_x 1
		.amdhsa_system_sgpr_workgroup_id_y 0
		.amdhsa_system_sgpr_workgroup_id_z 0
		.amdhsa_system_sgpr_workgroup_info 0
		.amdhsa_system_vgpr_workitem_id 0
		.amdhsa_next_free_vgpr 8
		.amdhsa_next_free_sgpr 10
		.amdhsa_reserve_vcc 1
		.amdhsa_reserve_flat_scratch 0
		.amdhsa_float_round_mode_32 0
		.amdhsa_float_round_mode_16_64 0
		.amdhsa_float_denorm_mode_32 3
		.amdhsa_float_denorm_mode_16_64 3
		.amdhsa_dx10_clamp 1
		.amdhsa_ieee_mode 1
		.amdhsa_fp16_overflow 0
		.amdhsa_workgroup_processor_mode 1
		.amdhsa_memory_ordered 1
		.amdhsa_forward_progress 1
		.amdhsa_shared_vgpr_count 0
		.amdhsa_exception_fp_ieee_invalid_op 0
		.amdhsa_exception_fp_denorm_src 0
		.amdhsa_exception_fp_ieee_div_zero 0
		.amdhsa_exception_fp_ieee_overflow 0
		.amdhsa_exception_fp_ieee_underflow 0
		.amdhsa_exception_fp_ieee_inexact 0
		.amdhsa_exception_int_div_zero 0
	.end_amdhsa_kernel
	.section	.text._ZN9rocsparseL19nnz_compress_kernelILi1024ELi128ELi8EfEEvi21rocsparse_index_base_PKT2_PKiPiS2_,"axG",@progbits,_ZN9rocsparseL19nnz_compress_kernelILi1024ELi128ELi8EfEEvi21rocsparse_index_base_PKT2_PKiPiS2_,comdat
.Lfunc_end2:
	.size	_ZN9rocsparseL19nnz_compress_kernelILi1024ELi128ELi8EfEEvi21rocsparse_index_base_PKT2_PKiPiS2_, .Lfunc_end2-_ZN9rocsparseL19nnz_compress_kernelILi1024ELi128ELi8EfEEvi21rocsparse_index_base_PKT2_PKiPiS2_
                                        ; -- End function
	.set _ZN9rocsparseL19nnz_compress_kernelILi1024ELi128ELi8EfEEvi21rocsparse_index_base_PKT2_PKiPiS2_.num_vgpr, 8
	.set _ZN9rocsparseL19nnz_compress_kernelILi1024ELi128ELi8EfEEvi21rocsparse_index_base_PKT2_PKiPiS2_.num_agpr, 0
	.set _ZN9rocsparseL19nnz_compress_kernelILi1024ELi128ELi8EfEEvi21rocsparse_index_base_PKT2_PKiPiS2_.numbered_sgpr, 10
	.set _ZN9rocsparseL19nnz_compress_kernelILi1024ELi128ELi8EfEEvi21rocsparse_index_base_PKT2_PKiPiS2_.num_named_barrier, 0
	.set _ZN9rocsparseL19nnz_compress_kernelILi1024ELi128ELi8EfEEvi21rocsparse_index_base_PKT2_PKiPiS2_.private_seg_size, 0
	.set _ZN9rocsparseL19nnz_compress_kernelILi1024ELi128ELi8EfEEvi21rocsparse_index_base_PKT2_PKiPiS2_.uses_vcc, 1
	.set _ZN9rocsparseL19nnz_compress_kernelILi1024ELi128ELi8EfEEvi21rocsparse_index_base_PKT2_PKiPiS2_.uses_flat_scratch, 0
	.set _ZN9rocsparseL19nnz_compress_kernelILi1024ELi128ELi8EfEEvi21rocsparse_index_base_PKT2_PKiPiS2_.has_dyn_sized_stack, 0
	.set _ZN9rocsparseL19nnz_compress_kernelILi1024ELi128ELi8EfEEvi21rocsparse_index_base_PKT2_PKiPiS2_.has_recursion, 0
	.set _ZN9rocsparseL19nnz_compress_kernelILi1024ELi128ELi8EfEEvi21rocsparse_index_base_PKT2_PKiPiS2_.has_indirect_call, 0
	.section	.AMDGPU.csdata,"",@progbits
; Kernel info:
; codeLenInByte = 444
; TotalNumSgprs: 12
; NumVgprs: 8
; ScratchSize: 0
; MemoryBound: 0
; FloatMode: 240
; IeeeMode: 1
; LDSByteSize: 0 bytes/workgroup (compile time only)
; SGPRBlocks: 0
; VGPRBlocks: 0
; NumSGPRsForWavesPerEU: 12
; NumVGPRsForWavesPerEU: 8
; Occupancy: 16
; WaveLimiterHint : 0
; COMPUTE_PGM_RSRC2:SCRATCH_EN: 0
; COMPUTE_PGM_RSRC2:USER_SGPR: 6
; COMPUTE_PGM_RSRC2:TRAP_HANDLER: 0
; COMPUTE_PGM_RSRC2:TGID_X_EN: 1
; COMPUTE_PGM_RSRC2:TGID_Y_EN: 0
; COMPUTE_PGM_RSRC2:TGID_Z_EN: 0
; COMPUTE_PGM_RSRC2:TIDIG_COMP_CNT: 0
	.section	.text._ZN9rocsparseL19nnz_compress_kernelILi1024ELi64ELi16EfEEvi21rocsparse_index_base_PKT2_PKiPiS2_,"axG",@progbits,_ZN9rocsparseL19nnz_compress_kernelILi1024ELi64ELi16EfEEvi21rocsparse_index_base_PKT2_PKiPiS2_,comdat
	.globl	_ZN9rocsparseL19nnz_compress_kernelILi1024ELi64ELi16EfEEvi21rocsparse_index_base_PKT2_PKiPiS2_ ; -- Begin function _ZN9rocsparseL19nnz_compress_kernelILi1024ELi64ELi16EfEEvi21rocsparse_index_base_PKT2_PKiPiS2_
	.p2align	8
	.type	_ZN9rocsparseL19nnz_compress_kernelILi1024ELi64ELi16EfEEvi21rocsparse_index_base_PKT2_PKiPiS2_,@function
_ZN9rocsparseL19nnz_compress_kernelILi1024ELi64ELi16EfEEvi21rocsparse_index_base_PKT2_PKiPiS2_: ; @_ZN9rocsparseL19nnz_compress_kernelILi1024ELi64ELi16EfEEvi21rocsparse_index_base_PKT2_PKiPiS2_
; %bb.0:
	s_load_dwordx2 s[8:9], s[4:5], 0x0
	v_lshrrev_b32_e32 v1, 4, v0
	s_mov_b32 s0, exec_lo
	v_lshl_or_b32 v1, s6, 6, v1
	s_waitcnt lgkmcnt(0)
	v_cmpx_gt_i32_e64 s8, v1
	s_cbranch_execz .LBB3_6
; %bb.1:
	s_load_dwordx4 s[0:3], s[4:5], 0x10
	v_ashrrev_i32_e32 v2, 31, v1
	v_and_b32_e32 v0, 15, v0
	s_mov_b32 s6, exec_lo
	v_lshlrev_b64 v[1:2], 2, v[1:2]
	v_subrev_nc_u32_e32 v0, s9, v0
	s_waitcnt lgkmcnt(0)
	v_add_co_u32 v3, vcc_lo, s0, v1
	v_add_co_ci_u32_e64 v4, null, s1, v2, vcc_lo
	global_load_dwordx2 v[3:4], v[3:4], off
	s_waitcnt vmcnt(0)
	v_subrev_nc_u32_e32 v6, s9, v4
	v_add_nc_u32_e32 v3, v3, v0
	v_mov_b32_e32 v0, 0
	v_cmpx_lt_i32_e64 v3, v6
	s_cbranch_execz .LBB3_5
; %bb.2:
	s_clause 0x1
	s_load_dwordx2 s[0:1], s[4:5], 0x8
	s_load_dword s4, s[4:5], 0x20
	v_ashrrev_i32_e32 v4, 31, v3
	v_mov_b32_e32 v0, 0
	s_mov_b32 s5, 0
	v_lshlrev_b64 v[4:5], 2, v[3:4]
	s_waitcnt lgkmcnt(0)
	v_add_co_u32 v4, vcc_lo, s0, v4
	v_add_co_ci_u32_e64 v5, null, s1, v5, vcc_lo
	.p2align	6
.LBB3_3:                                ; =>This Inner Loop Header: Depth=1
	global_load_dword v7, v[4:5], off
	v_add_nc_u32_e32 v3, 16, v3
	s_waitcnt vmcnt(0)
	v_cmp_gt_f32_e32 vcc_lo, 0, v7
	v_cndmask_b32_e64 v7, v7, -v7, vcc_lo
	v_add_co_u32 v4, vcc_lo, v4, 64
	v_add_co_ci_u32_e64 v5, null, 0, v5, vcc_lo
	v_cmp_lt_f32_e64 s0, s4, v7
	v_cmp_lt_f32_e64 s1, 0x800000, v7
	v_cmp_ge_i32_e32 vcc_lo, v3, v6
	s_and_b32 s0, s0, s1
	s_or_b32 s5, vcc_lo, s5
	v_add_co_ci_u32_e64 v0, null, 0, v0, s0
	s_andn2_b32 exec_lo, exec_lo, s5
	s_cbranch_execnz .LBB3_3
; %bb.4:
	s_or_b32 exec_lo, exec_lo, s5
.LBB3_5:
	s_or_b32 exec_lo, exec_lo, s6
	v_mbcnt_lo_u32_b32 v3, -1, 0
	v_xor_b32_e32 v4, 8, v3
	v_xor_b32_e32 v5, 4, v3
	v_cmp_gt_i32_e32 vcc_lo, 32, v4
	v_cndmask_b32_e32 v4, v3, v4, vcc_lo
	v_cmp_gt_i32_e32 vcc_lo, 32, v5
	v_lshlrev_b32_e32 v4, 2, v4
	v_cndmask_b32_e32 v5, v3, v5, vcc_lo
	ds_bpermute_b32 v4, v4, v0
	v_lshlrev_b32_e32 v5, 2, v5
	s_waitcnt lgkmcnt(0)
	v_add_nc_u32_e32 v0, v4, v0
	ds_bpermute_b32 v4, v5, v0
	v_xor_b32_e32 v5, 2, v3
	v_cmp_gt_i32_e32 vcc_lo, 32, v5
	v_cndmask_b32_e32 v5, v3, v5, vcc_lo
	v_lshlrev_b32_e32 v5, 2, v5
	s_waitcnt lgkmcnt(0)
	v_add_nc_u32_e32 v0, v4, v0
	ds_bpermute_b32 v4, v5, v0
	v_xor_b32_e32 v5, 1, v3
	v_cmp_gt_i32_e32 vcc_lo, 32, v5
	v_cndmask_b32_e32 v5, v3, v5, vcc_lo
	v_lshl_or_b32 v3, v3, 2, 60
	v_lshlrev_b32_e32 v5, 2, v5
	s_waitcnt lgkmcnt(0)
	v_add_nc_u32_e32 v0, v4, v0
	ds_bpermute_b32 v4, v5, v0
	s_waitcnt lgkmcnt(0)
	v_add_nc_u32_e32 v0, v4, v0
	ds_bpermute_b32 v3, v3, v0
	v_add_co_u32 v0, vcc_lo, s2, v1
	v_add_co_ci_u32_e64 v1, null, s3, v2, vcc_lo
	s_waitcnt lgkmcnt(0)
	global_store_dword v[0:1], v3, off
.LBB3_6:
	s_endpgm
	.section	.rodata,"a",@progbits
	.p2align	6, 0x0
	.amdhsa_kernel _ZN9rocsparseL19nnz_compress_kernelILi1024ELi64ELi16EfEEvi21rocsparse_index_base_PKT2_PKiPiS2_
		.amdhsa_group_segment_fixed_size 0
		.amdhsa_private_segment_fixed_size 0
		.amdhsa_kernarg_size 36
		.amdhsa_user_sgpr_count 6
		.amdhsa_user_sgpr_private_segment_buffer 1
		.amdhsa_user_sgpr_dispatch_ptr 0
		.amdhsa_user_sgpr_queue_ptr 0
		.amdhsa_user_sgpr_kernarg_segment_ptr 1
		.amdhsa_user_sgpr_dispatch_id 0
		.amdhsa_user_sgpr_flat_scratch_init 0
		.amdhsa_user_sgpr_private_segment_size 0
		.amdhsa_wavefront_size32 1
		.amdhsa_uses_dynamic_stack 0
		.amdhsa_system_sgpr_private_segment_wavefront_offset 0
		.amdhsa_system_sgpr_workgroup_id_x 1
		.amdhsa_system_sgpr_workgroup_id_y 0
		.amdhsa_system_sgpr_workgroup_id_z 0
		.amdhsa_system_sgpr_workgroup_info 0
		.amdhsa_system_vgpr_workitem_id 0
		.amdhsa_next_free_vgpr 8
		.amdhsa_next_free_sgpr 10
		.amdhsa_reserve_vcc 1
		.amdhsa_reserve_flat_scratch 0
		.amdhsa_float_round_mode_32 0
		.amdhsa_float_round_mode_16_64 0
		.amdhsa_float_denorm_mode_32 3
		.amdhsa_float_denorm_mode_16_64 3
		.amdhsa_dx10_clamp 1
		.amdhsa_ieee_mode 1
		.amdhsa_fp16_overflow 0
		.amdhsa_workgroup_processor_mode 1
		.amdhsa_memory_ordered 1
		.amdhsa_forward_progress 1
		.amdhsa_shared_vgpr_count 0
		.amdhsa_exception_fp_ieee_invalid_op 0
		.amdhsa_exception_fp_denorm_src 0
		.amdhsa_exception_fp_ieee_div_zero 0
		.amdhsa_exception_fp_ieee_overflow 0
		.amdhsa_exception_fp_ieee_underflow 0
		.amdhsa_exception_fp_ieee_inexact 0
		.amdhsa_exception_int_div_zero 0
	.end_amdhsa_kernel
	.section	.text._ZN9rocsparseL19nnz_compress_kernelILi1024ELi64ELi16EfEEvi21rocsparse_index_base_PKT2_PKiPiS2_,"axG",@progbits,_ZN9rocsparseL19nnz_compress_kernelILi1024ELi64ELi16EfEEvi21rocsparse_index_base_PKT2_PKiPiS2_,comdat
.Lfunc_end3:
	.size	_ZN9rocsparseL19nnz_compress_kernelILi1024ELi64ELi16EfEEvi21rocsparse_index_base_PKT2_PKiPiS2_, .Lfunc_end3-_ZN9rocsparseL19nnz_compress_kernelILi1024ELi64ELi16EfEEvi21rocsparse_index_base_PKT2_PKiPiS2_
                                        ; -- End function
	.set _ZN9rocsparseL19nnz_compress_kernelILi1024ELi64ELi16EfEEvi21rocsparse_index_base_PKT2_PKiPiS2_.num_vgpr, 8
	.set _ZN9rocsparseL19nnz_compress_kernelILi1024ELi64ELi16EfEEvi21rocsparse_index_base_PKT2_PKiPiS2_.num_agpr, 0
	.set _ZN9rocsparseL19nnz_compress_kernelILi1024ELi64ELi16EfEEvi21rocsparse_index_base_PKT2_PKiPiS2_.numbered_sgpr, 10
	.set _ZN9rocsparseL19nnz_compress_kernelILi1024ELi64ELi16EfEEvi21rocsparse_index_base_PKT2_PKiPiS2_.num_named_barrier, 0
	.set _ZN9rocsparseL19nnz_compress_kernelILi1024ELi64ELi16EfEEvi21rocsparse_index_base_PKT2_PKiPiS2_.private_seg_size, 0
	.set _ZN9rocsparseL19nnz_compress_kernelILi1024ELi64ELi16EfEEvi21rocsparse_index_base_PKT2_PKiPiS2_.uses_vcc, 1
	.set _ZN9rocsparseL19nnz_compress_kernelILi1024ELi64ELi16EfEEvi21rocsparse_index_base_PKT2_PKiPiS2_.uses_flat_scratch, 0
	.set _ZN9rocsparseL19nnz_compress_kernelILi1024ELi64ELi16EfEEvi21rocsparse_index_base_PKT2_PKiPiS2_.has_dyn_sized_stack, 0
	.set _ZN9rocsparseL19nnz_compress_kernelILi1024ELi64ELi16EfEEvi21rocsparse_index_base_PKT2_PKiPiS2_.has_recursion, 0
	.set _ZN9rocsparseL19nnz_compress_kernelILi1024ELi64ELi16EfEEvi21rocsparse_index_base_PKT2_PKiPiS2_.has_indirect_call, 0
	.section	.AMDGPU.csdata,"",@progbits
; Kernel info:
; codeLenInByte = 476
; TotalNumSgprs: 12
; NumVgprs: 8
; ScratchSize: 0
; MemoryBound: 0
; FloatMode: 240
; IeeeMode: 1
; LDSByteSize: 0 bytes/workgroup (compile time only)
; SGPRBlocks: 0
; VGPRBlocks: 0
; NumSGPRsForWavesPerEU: 12
; NumVGPRsForWavesPerEU: 8
; Occupancy: 16
; WaveLimiterHint : 0
; COMPUTE_PGM_RSRC2:SCRATCH_EN: 0
; COMPUTE_PGM_RSRC2:USER_SGPR: 6
; COMPUTE_PGM_RSRC2:TRAP_HANDLER: 0
; COMPUTE_PGM_RSRC2:TGID_X_EN: 1
; COMPUTE_PGM_RSRC2:TGID_Y_EN: 0
; COMPUTE_PGM_RSRC2:TGID_Z_EN: 0
; COMPUTE_PGM_RSRC2:TIDIG_COMP_CNT: 0
	.section	.text._ZN9rocsparseL19nnz_compress_kernelILi1024ELi32ELi32EfEEvi21rocsparse_index_base_PKT2_PKiPiS2_,"axG",@progbits,_ZN9rocsparseL19nnz_compress_kernelILi1024ELi32ELi32EfEEvi21rocsparse_index_base_PKT2_PKiPiS2_,comdat
	.globl	_ZN9rocsparseL19nnz_compress_kernelILi1024ELi32ELi32EfEEvi21rocsparse_index_base_PKT2_PKiPiS2_ ; -- Begin function _ZN9rocsparseL19nnz_compress_kernelILi1024ELi32ELi32EfEEvi21rocsparse_index_base_PKT2_PKiPiS2_
	.p2align	8
	.type	_ZN9rocsparseL19nnz_compress_kernelILi1024ELi32ELi32EfEEvi21rocsparse_index_base_PKT2_PKiPiS2_,@function
_ZN9rocsparseL19nnz_compress_kernelILi1024ELi32ELi32EfEEvi21rocsparse_index_base_PKT2_PKiPiS2_: ; @_ZN9rocsparseL19nnz_compress_kernelILi1024ELi32ELi32EfEEvi21rocsparse_index_base_PKT2_PKiPiS2_
; %bb.0:
	s_load_dwordx2 s[8:9], s[4:5], 0x0
	v_lshrrev_b32_e32 v1, 5, v0
	s_mov_b32 s0, exec_lo
	v_lshl_or_b32 v1, s6, 5, v1
	s_waitcnt lgkmcnt(0)
	v_cmpx_gt_i32_e64 s8, v1
	s_cbranch_execz .LBB4_6
; %bb.1:
	s_load_dwordx4 s[0:3], s[4:5], 0x10
	v_ashrrev_i32_e32 v2, 31, v1
	v_and_b32_e32 v0, 31, v0
	s_mov_b32 s6, exec_lo
	v_lshlrev_b64 v[1:2], 2, v[1:2]
	v_subrev_nc_u32_e32 v0, s9, v0
	s_waitcnt lgkmcnt(0)
	v_add_co_u32 v3, vcc_lo, s0, v1
	v_add_co_ci_u32_e64 v4, null, s1, v2, vcc_lo
	global_load_dwordx2 v[3:4], v[3:4], off
	s_waitcnt vmcnt(0)
	v_subrev_nc_u32_e32 v6, s9, v4
	v_add_nc_u32_e32 v3, v3, v0
	v_mov_b32_e32 v0, 0
	v_cmpx_lt_i32_e64 v3, v6
	s_cbranch_execz .LBB4_5
; %bb.2:
	s_clause 0x1
	s_load_dwordx2 s[0:1], s[4:5], 0x8
	s_load_dword s4, s[4:5], 0x20
	v_ashrrev_i32_e32 v4, 31, v3
	v_mov_b32_e32 v0, 0
	s_mov_b32 s5, 0
	v_lshlrev_b64 v[4:5], 2, v[3:4]
	s_waitcnt lgkmcnt(0)
	v_add_co_u32 v4, vcc_lo, s0, v4
	v_add_co_ci_u32_e64 v5, null, s1, v5, vcc_lo
	.p2align	6
.LBB4_3:                                ; =>This Inner Loop Header: Depth=1
	global_load_dword v7, v[4:5], off
	v_add_nc_u32_e32 v3, 32, v3
	s_waitcnt vmcnt(0)
	v_cmp_gt_f32_e32 vcc_lo, 0, v7
	v_cndmask_b32_e64 v7, v7, -v7, vcc_lo
	v_add_co_u32 v4, vcc_lo, 0x80, v4
	v_add_co_ci_u32_e64 v5, null, 0, v5, vcc_lo
	v_cmp_lt_f32_e64 s0, s4, v7
	v_cmp_lt_f32_e64 s1, 0x800000, v7
	v_cmp_ge_i32_e32 vcc_lo, v3, v6
	s_and_b32 s0, s0, s1
	s_or_b32 s5, vcc_lo, s5
	v_add_co_ci_u32_e64 v0, null, 0, v0, s0
	s_andn2_b32 exec_lo, exec_lo, s5
	s_cbranch_execnz .LBB4_3
; %bb.4:
	s_or_b32 exec_lo, exec_lo, s5
.LBB4_5:
	s_or_b32 exec_lo, exec_lo, s6
	v_mbcnt_lo_u32_b32 v3, -1, 0
	v_xor_b32_e32 v4, 16, v3
	v_xor_b32_e32 v5, 8, v3
	v_cmp_gt_i32_e32 vcc_lo, 32, v4
	v_cndmask_b32_e32 v4, v3, v4, vcc_lo
	v_cmp_gt_i32_e32 vcc_lo, 32, v5
	v_lshlrev_b32_e32 v4, 2, v4
	v_cndmask_b32_e32 v5, v3, v5, vcc_lo
	ds_bpermute_b32 v4, v4, v0
	v_lshlrev_b32_e32 v5, 2, v5
	s_waitcnt lgkmcnt(0)
	v_add_nc_u32_e32 v0, v4, v0
	ds_bpermute_b32 v4, v5, v0
	v_xor_b32_e32 v5, 4, v3
	v_cmp_gt_i32_e32 vcc_lo, 32, v5
	v_cndmask_b32_e32 v5, v3, v5, vcc_lo
	v_lshlrev_b32_e32 v5, 2, v5
	s_waitcnt lgkmcnt(0)
	v_add_nc_u32_e32 v0, v4, v0
	ds_bpermute_b32 v4, v5, v0
	v_xor_b32_e32 v5, 2, v3
	v_cmp_gt_i32_e32 vcc_lo, 32, v5
	v_cndmask_b32_e32 v5, v3, v5, vcc_lo
	;; [unrolled: 7-line block ×3, first 2 shown]
	v_lshlrev_b32_e32 v3, 2, v3
	s_waitcnt lgkmcnt(0)
	v_add_nc_u32_e32 v0, v4, v0
	ds_bpermute_b32 v3, v3, v0
	s_waitcnt lgkmcnt(0)
	v_add_nc_u32_e32 v0, v3, v0
	v_mov_b32_e32 v3, 0
	ds_bpermute_b32 v3, v3, v0 offset:124
	v_add_co_u32 v0, vcc_lo, s2, v1
	v_add_co_ci_u32_e64 v1, null, s3, v2, vcc_lo
	s_waitcnt lgkmcnt(0)
	global_store_dword v[0:1], v3, off
.LBB4_6:
	s_endpgm
	.section	.rodata,"a",@progbits
	.p2align	6, 0x0
	.amdhsa_kernel _ZN9rocsparseL19nnz_compress_kernelILi1024ELi32ELi32EfEEvi21rocsparse_index_base_PKT2_PKiPiS2_
		.amdhsa_group_segment_fixed_size 0
		.amdhsa_private_segment_fixed_size 0
		.amdhsa_kernarg_size 36
		.amdhsa_user_sgpr_count 6
		.amdhsa_user_sgpr_private_segment_buffer 1
		.amdhsa_user_sgpr_dispatch_ptr 0
		.amdhsa_user_sgpr_queue_ptr 0
		.amdhsa_user_sgpr_kernarg_segment_ptr 1
		.amdhsa_user_sgpr_dispatch_id 0
		.amdhsa_user_sgpr_flat_scratch_init 0
		.amdhsa_user_sgpr_private_segment_size 0
		.amdhsa_wavefront_size32 1
		.amdhsa_uses_dynamic_stack 0
		.amdhsa_system_sgpr_private_segment_wavefront_offset 0
		.amdhsa_system_sgpr_workgroup_id_x 1
		.amdhsa_system_sgpr_workgroup_id_y 0
		.amdhsa_system_sgpr_workgroup_id_z 0
		.amdhsa_system_sgpr_workgroup_info 0
		.amdhsa_system_vgpr_workitem_id 0
		.amdhsa_next_free_vgpr 8
		.amdhsa_next_free_sgpr 10
		.amdhsa_reserve_vcc 1
		.amdhsa_reserve_flat_scratch 0
		.amdhsa_float_round_mode_32 0
		.amdhsa_float_round_mode_16_64 0
		.amdhsa_float_denorm_mode_32 3
		.amdhsa_float_denorm_mode_16_64 3
		.amdhsa_dx10_clamp 1
		.amdhsa_ieee_mode 1
		.amdhsa_fp16_overflow 0
		.amdhsa_workgroup_processor_mode 1
		.amdhsa_memory_ordered 1
		.amdhsa_forward_progress 1
		.amdhsa_shared_vgpr_count 0
		.amdhsa_exception_fp_ieee_invalid_op 0
		.amdhsa_exception_fp_denorm_src 0
		.amdhsa_exception_fp_ieee_div_zero 0
		.amdhsa_exception_fp_ieee_overflow 0
		.amdhsa_exception_fp_ieee_underflow 0
		.amdhsa_exception_fp_ieee_inexact 0
		.amdhsa_exception_int_div_zero 0
	.end_amdhsa_kernel
	.section	.text._ZN9rocsparseL19nnz_compress_kernelILi1024ELi32ELi32EfEEvi21rocsparse_index_base_PKT2_PKiPiS2_,"axG",@progbits,_ZN9rocsparseL19nnz_compress_kernelILi1024ELi32ELi32EfEEvi21rocsparse_index_base_PKT2_PKiPiS2_,comdat
.Lfunc_end4:
	.size	_ZN9rocsparseL19nnz_compress_kernelILi1024ELi32ELi32EfEEvi21rocsparse_index_base_PKT2_PKiPiS2_, .Lfunc_end4-_ZN9rocsparseL19nnz_compress_kernelILi1024ELi32ELi32EfEEvi21rocsparse_index_base_PKT2_PKiPiS2_
                                        ; -- End function
	.set _ZN9rocsparseL19nnz_compress_kernelILi1024ELi32ELi32EfEEvi21rocsparse_index_base_PKT2_PKiPiS2_.num_vgpr, 8
	.set _ZN9rocsparseL19nnz_compress_kernelILi1024ELi32ELi32EfEEvi21rocsparse_index_base_PKT2_PKiPiS2_.num_agpr, 0
	.set _ZN9rocsparseL19nnz_compress_kernelILi1024ELi32ELi32EfEEvi21rocsparse_index_base_PKT2_PKiPiS2_.numbered_sgpr, 10
	.set _ZN9rocsparseL19nnz_compress_kernelILi1024ELi32ELi32EfEEvi21rocsparse_index_base_PKT2_PKiPiS2_.num_named_barrier, 0
	.set _ZN9rocsparseL19nnz_compress_kernelILi1024ELi32ELi32EfEEvi21rocsparse_index_base_PKT2_PKiPiS2_.private_seg_size, 0
	.set _ZN9rocsparseL19nnz_compress_kernelILi1024ELi32ELi32EfEEvi21rocsparse_index_base_PKT2_PKiPiS2_.uses_vcc, 1
	.set _ZN9rocsparseL19nnz_compress_kernelILi1024ELi32ELi32EfEEvi21rocsparse_index_base_PKT2_PKiPiS2_.uses_flat_scratch, 0
	.set _ZN9rocsparseL19nnz_compress_kernelILi1024ELi32ELi32EfEEvi21rocsparse_index_base_PKT2_PKiPiS2_.has_dyn_sized_stack, 0
	.set _ZN9rocsparseL19nnz_compress_kernelILi1024ELi32ELi32EfEEvi21rocsparse_index_base_PKT2_PKiPiS2_.has_recursion, 0
	.set _ZN9rocsparseL19nnz_compress_kernelILi1024ELi32ELi32EfEEvi21rocsparse_index_base_PKT2_PKiPiS2_.has_indirect_call, 0
	.section	.AMDGPU.csdata,"",@progbits
; Kernel info:
; codeLenInByte = 508
; TotalNumSgprs: 12
; NumVgprs: 8
; ScratchSize: 0
; MemoryBound: 0
; FloatMode: 240
; IeeeMode: 1
; LDSByteSize: 0 bytes/workgroup (compile time only)
; SGPRBlocks: 0
; VGPRBlocks: 0
; NumSGPRsForWavesPerEU: 12
; NumVGPRsForWavesPerEU: 8
; Occupancy: 16
; WaveLimiterHint : 0
; COMPUTE_PGM_RSRC2:SCRATCH_EN: 0
; COMPUTE_PGM_RSRC2:USER_SGPR: 6
; COMPUTE_PGM_RSRC2:TRAP_HANDLER: 0
; COMPUTE_PGM_RSRC2:TGID_X_EN: 1
; COMPUTE_PGM_RSRC2:TGID_Y_EN: 0
; COMPUTE_PGM_RSRC2:TGID_Z_EN: 0
; COMPUTE_PGM_RSRC2:TIDIG_COMP_CNT: 0
	.section	.text._ZN9rocsparseL19nnz_compress_kernelILi1024ELi16ELi64EfEEvi21rocsparse_index_base_PKT2_PKiPiS2_,"axG",@progbits,_ZN9rocsparseL19nnz_compress_kernelILi1024ELi16ELi64EfEEvi21rocsparse_index_base_PKT2_PKiPiS2_,comdat
	.globl	_ZN9rocsparseL19nnz_compress_kernelILi1024ELi16ELi64EfEEvi21rocsparse_index_base_PKT2_PKiPiS2_ ; -- Begin function _ZN9rocsparseL19nnz_compress_kernelILi1024ELi16ELi64EfEEvi21rocsparse_index_base_PKT2_PKiPiS2_
	.p2align	8
	.type	_ZN9rocsparseL19nnz_compress_kernelILi1024ELi16ELi64EfEEvi21rocsparse_index_base_PKT2_PKiPiS2_,@function
_ZN9rocsparseL19nnz_compress_kernelILi1024ELi16ELi64EfEEvi21rocsparse_index_base_PKT2_PKiPiS2_: ; @_ZN9rocsparseL19nnz_compress_kernelILi1024ELi16ELi64EfEEvi21rocsparse_index_base_PKT2_PKiPiS2_
; %bb.0:
	s_load_dwordx2 s[8:9], s[4:5], 0x0
	v_lshrrev_b32_e32 v1, 6, v0
	s_mov_b32 s0, exec_lo
	v_lshl_or_b32 v1, s6, 4, v1
	s_waitcnt lgkmcnt(0)
	v_cmpx_gt_i32_e64 s8, v1
	s_cbranch_execz .LBB5_6
; %bb.1:
	s_load_dwordx4 s[0:3], s[4:5], 0x10
	v_ashrrev_i32_e32 v2, 31, v1
	v_and_b32_e32 v0, 63, v0
	s_mov_b32 s6, exec_lo
	v_lshlrev_b64 v[1:2], 2, v[1:2]
	v_subrev_nc_u32_e32 v0, s9, v0
	s_waitcnt lgkmcnt(0)
	v_add_co_u32 v3, vcc_lo, s0, v1
	v_add_co_ci_u32_e64 v4, null, s1, v2, vcc_lo
	global_load_dwordx2 v[3:4], v[3:4], off
	s_waitcnt vmcnt(0)
	v_subrev_nc_u32_e32 v6, s9, v4
	v_add_nc_u32_e32 v3, v3, v0
	v_mov_b32_e32 v0, 0
	v_cmpx_lt_i32_e64 v3, v6
	s_cbranch_execz .LBB5_5
; %bb.2:
	s_clause 0x1
	s_load_dwordx2 s[0:1], s[4:5], 0x8
	s_load_dword s4, s[4:5], 0x20
	v_ashrrev_i32_e32 v4, 31, v3
	v_mov_b32_e32 v0, 0
	s_mov_b32 s5, 0
	v_lshlrev_b64 v[4:5], 2, v[3:4]
	s_waitcnt lgkmcnt(0)
	v_add_co_u32 v4, vcc_lo, s0, v4
	v_add_co_ci_u32_e64 v5, null, s1, v5, vcc_lo
	.p2align	6
.LBB5_3:                                ; =>This Inner Loop Header: Depth=1
	global_load_dword v7, v[4:5], off
	v_add_nc_u32_e32 v3, 64, v3
	s_waitcnt vmcnt(0)
	v_cmp_gt_f32_e32 vcc_lo, 0, v7
	v_cndmask_b32_e64 v7, v7, -v7, vcc_lo
	v_add_co_u32 v4, vcc_lo, 0x100, v4
	v_add_co_ci_u32_e64 v5, null, 0, v5, vcc_lo
	v_cmp_lt_f32_e64 s0, s4, v7
	v_cmp_lt_f32_e64 s1, 0x800000, v7
	v_cmp_ge_i32_e32 vcc_lo, v3, v6
	s_and_b32 s0, s0, s1
	s_or_b32 s5, vcc_lo, s5
	v_add_co_ci_u32_e64 v0, null, 0, v0, s0
	s_andn2_b32 exec_lo, exec_lo, s5
	s_cbranch_execnz .LBB5_3
; %bb.4:
	s_or_b32 exec_lo, exec_lo, s5
.LBB5_5:
	s_or_b32 exec_lo, exec_lo, s6
	v_mbcnt_lo_u32_b32 v3, -1, 0
	v_or_b32_e32 v4, 32, v3
	v_xor_b32_e32 v5, 16, v3
	v_cmp_gt_i32_e32 vcc_lo, 32, v4
	v_cndmask_b32_e32 v4, v3, v4, vcc_lo
	v_cmp_gt_i32_e32 vcc_lo, 32, v5
	v_lshlrev_b32_e32 v4, 2, v4
	v_cndmask_b32_e32 v5, v3, v5, vcc_lo
	ds_bpermute_b32 v4, v4, v0
	v_lshlrev_b32_e32 v5, 2, v5
	s_waitcnt lgkmcnt(0)
	v_add_nc_u32_e32 v0, v4, v0
	ds_bpermute_b32 v4, v5, v0
	v_xor_b32_e32 v5, 8, v3
	v_cmp_gt_i32_e32 vcc_lo, 32, v5
	v_cndmask_b32_e32 v5, v3, v5, vcc_lo
	v_lshlrev_b32_e32 v5, 2, v5
	s_waitcnt lgkmcnt(0)
	v_add_nc_u32_e32 v0, v4, v0
	ds_bpermute_b32 v4, v5, v0
	v_xor_b32_e32 v5, 4, v3
	v_cmp_gt_i32_e32 vcc_lo, 32, v5
	v_cndmask_b32_e32 v5, v3, v5, vcc_lo
	;; [unrolled: 7-line block ×4, first 2 shown]
	v_lshlrev_b32_e32 v3, 2, v3
	s_waitcnt lgkmcnt(0)
	v_add_nc_u32_e32 v0, v4, v0
	ds_bpermute_b32 v3, v3, v0
	s_waitcnt lgkmcnt(0)
	v_add_nc_u32_e32 v0, v3, v0
	v_mov_b32_e32 v3, 0
	ds_bpermute_b32 v3, v3, v0 offset:252
	v_add_co_u32 v0, vcc_lo, s2, v1
	v_add_co_ci_u32_e64 v1, null, s3, v2, vcc_lo
	s_waitcnt lgkmcnt(0)
	global_store_dword v[0:1], v3, off
.LBB5_6:
	s_endpgm
	.section	.rodata,"a",@progbits
	.p2align	6, 0x0
	.amdhsa_kernel _ZN9rocsparseL19nnz_compress_kernelILi1024ELi16ELi64EfEEvi21rocsparse_index_base_PKT2_PKiPiS2_
		.amdhsa_group_segment_fixed_size 0
		.amdhsa_private_segment_fixed_size 0
		.amdhsa_kernarg_size 36
		.amdhsa_user_sgpr_count 6
		.amdhsa_user_sgpr_private_segment_buffer 1
		.amdhsa_user_sgpr_dispatch_ptr 0
		.amdhsa_user_sgpr_queue_ptr 0
		.amdhsa_user_sgpr_kernarg_segment_ptr 1
		.amdhsa_user_sgpr_dispatch_id 0
		.amdhsa_user_sgpr_flat_scratch_init 0
		.amdhsa_user_sgpr_private_segment_size 0
		.amdhsa_wavefront_size32 1
		.amdhsa_uses_dynamic_stack 0
		.amdhsa_system_sgpr_private_segment_wavefront_offset 0
		.amdhsa_system_sgpr_workgroup_id_x 1
		.amdhsa_system_sgpr_workgroup_id_y 0
		.amdhsa_system_sgpr_workgroup_id_z 0
		.amdhsa_system_sgpr_workgroup_info 0
		.amdhsa_system_vgpr_workitem_id 0
		.amdhsa_next_free_vgpr 8
		.amdhsa_next_free_sgpr 10
		.amdhsa_reserve_vcc 1
		.amdhsa_reserve_flat_scratch 0
		.amdhsa_float_round_mode_32 0
		.amdhsa_float_round_mode_16_64 0
		.amdhsa_float_denorm_mode_32 3
		.amdhsa_float_denorm_mode_16_64 3
		.amdhsa_dx10_clamp 1
		.amdhsa_ieee_mode 1
		.amdhsa_fp16_overflow 0
		.amdhsa_workgroup_processor_mode 1
		.amdhsa_memory_ordered 1
		.amdhsa_forward_progress 1
		.amdhsa_shared_vgpr_count 0
		.amdhsa_exception_fp_ieee_invalid_op 0
		.amdhsa_exception_fp_denorm_src 0
		.amdhsa_exception_fp_ieee_div_zero 0
		.amdhsa_exception_fp_ieee_overflow 0
		.amdhsa_exception_fp_ieee_underflow 0
		.amdhsa_exception_fp_ieee_inexact 0
		.amdhsa_exception_int_div_zero 0
	.end_amdhsa_kernel
	.section	.text._ZN9rocsparseL19nnz_compress_kernelILi1024ELi16ELi64EfEEvi21rocsparse_index_base_PKT2_PKiPiS2_,"axG",@progbits,_ZN9rocsparseL19nnz_compress_kernelILi1024ELi16ELi64EfEEvi21rocsparse_index_base_PKT2_PKiPiS2_,comdat
.Lfunc_end5:
	.size	_ZN9rocsparseL19nnz_compress_kernelILi1024ELi16ELi64EfEEvi21rocsparse_index_base_PKT2_PKiPiS2_, .Lfunc_end5-_ZN9rocsparseL19nnz_compress_kernelILi1024ELi16ELi64EfEEvi21rocsparse_index_base_PKT2_PKiPiS2_
                                        ; -- End function
	.set _ZN9rocsparseL19nnz_compress_kernelILi1024ELi16ELi64EfEEvi21rocsparse_index_base_PKT2_PKiPiS2_.num_vgpr, 8
	.set _ZN9rocsparseL19nnz_compress_kernelILi1024ELi16ELi64EfEEvi21rocsparse_index_base_PKT2_PKiPiS2_.num_agpr, 0
	.set _ZN9rocsparseL19nnz_compress_kernelILi1024ELi16ELi64EfEEvi21rocsparse_index_base_PKT2_PKiPiS2_.numbered_sgpr, 10
	.set _ZN9rocsparseL19nnz_compress_kernelILi1024ELi16ELi64EfEEvi21rocsparse_index_base_PKT2_PKiPiS2_.num_named_barrier, 0
	.set _ZN9rocsparseL19nnz_compress_kernelILi1024ELi16ELi64EfEEvi21rocsparse_index_base_PKT2_PKiPiS2_.private_seg_size, 0
	.set _ZN9rocsparseL19nnz_compress_kernelILi1024ELi16ELi64EfEEvi21rocsparse_index_base_PKT2_PKiPiS2_.uses_vcc, 1
	.set _ZN9rocsparseL19nnz_compress_kernelILi1024ELi16ELi64EfEEvi21rocsparse_index_base_PKT2_PKiPiS2_.uses_flat_scratch, 0
	.set _ZN9rocsparseL19nnz_compress_kernelILi1024ELi16ELi64EfEEvi21rocsparse_index_base_PKT2_PKiPiS2_.has_dyn_sized_stack, 0
	.set _ZN9rocsparseL19nnz_compress_kernelILi1024ELi16ELi64EfEEvi21rocsparse_index_base_PKT2_PKiPiS2_.has_recursion, 0
	.set _ZN9rocsparseL19nnz_compress_kernelILi1024ELi16ELi64EfEEvi21rocsparse_index_base_PKT2_PKiPiS2_.has_indirect_call, 0
	.section	.AMDGPU.csdata,"",@progbits
; Kernel info:
; codeLenInByte = 540
; TotalNumSgprs: 12
; NumVgprs: 8
; ScratchSize: 0
; MemoryBound: 0
; FloatMode: 240
; IeeeMode: 1
; LDSByteSize: 0 bytes/workgroup (compile time only)
; SGPRBlocks: 0
; VGPRBlocks: 0
; NumSGPRsForWavesPerEU: 12
; NumVGPRsForWavesPerEU: 8
; Occupancy: 16
; WaveLimiterHint : 0
; COMPUTE_PGM_RSRC2:SCRATCH_EN: 0
; COMPUTE_PGM_RSRC2:USER_SGPR: 6
; COMPUTE_PGM_RSRC2:TRAP_HANDLER: 0
; COMPUTE_PGM_RSRC2:TGID_X_EN: 1
; COMPUTE_PGM_RSRC2:TGID_Y_EN: 0
; COMPUTE_PGM_RSRC2:TGID_Z_EN: 0
; COMPUTE_PGM_RSRC2:TIDIG_COMP_CNT: 0
	.section	.text._ZN9rocsparseL19nnz_compress_kernelILi1024ELi512ELi2EdEEvi21rocsparse_index_base_PKT2_PKiPiS2_,"axG",@progbits,_ZN9rocsparseL19nnz_compress_kernelILi1024ELi512ELi2EdEEvi21rocsparse_index_base_PKT2_PKiPiS2_,comdat
	.globl	_ZN9rocsparseL19nnz_compress_kernelILi1024ELi512ELi2EdEEvi21rocsparse_index_base_PKT2_PKiPiS2_ ; -- Begin function _ZN9rocsparseL19nnz_compress_kernelILi1024ELi512ELi2EdEEvi21rocsparse_index_base_PKT2_PKiPiS2_
	.p2align	8
	.type	_ZN9rocsparseL19nnz_compress_kernelILi1024ELi512ELi2EdEEvi21rocsparse_index_base_PKT2_PKiPiS2_,@function
_ZN9rocsparseL19nnz_compress_kernelILi1024ELi512ELi2EdEEvi21rocsparse_index_base_PKT2_PKiPiS2_: ; @_ZN9rocsparseL19nnz_compress_kernelILi1024ELi512ELi2EdEEvi21rocsparse_index_base_PKT2_PKiPiS2_
; %bb.0:
	s_load_dwordx2 s[8:9], s[4:5], 0x0
	v_lshrrev_b32_e32 v1, 1, v0
	s_mov_b32 s0, exec_lo
	v_lshl_or_b32 v1, s6, 9, v1
	s_waitcnt lgkmcnt(0)
	v_cmpx_gt_i32_e64 s8, v1
	s_cbranch_execz .LBB6_6
; %bb.1:
	s_load_dwordx4 s[0:3], s[4:5], 0x10
	v_ashrrev_i32_e32 v2, 31, v1
	v_and_b32_e32 v0, 1, v0
	v_mov_b32_e32 v6, 0
	s_mov_b32 s6, exec_lo
	v_lshlrev_b64 v[1:2], 2, v[1:2]
	v_subrev_nc_u32_e32 v5, s9, v0
	s_waitcnt lgkmcnt(0)
	v_add_co_u32 v3, vcc_lo, s0, v1
	v_add_co_ci_u32_e64 v4, null, s1, v2, vcc_lo
	global_load_dwordx2 v[3:4], v[3:4], off
	s_waitcnt vmcnt(0)
	v_subrev_nc_u32_e32 v0, s9, v4
	v_add_nc_u32_e32 v3, v3, v5
	v_cmpx_lt_i32_e64 v3, v0
	s_cbranch_execz .LBB6_5
; %bb.2:
	s_clause 0x1
	s_load_dwordx2 s[0:1], s[4:5], 0x8
	s_load_dwordx2 s[4:5], s[4:5], 0x20
	v_ashrrev_i32_e32 v4, 31, v3
	v_mov_b32_e32 v6, 0
	s_mov_b32 s7, 0
	v_lshlrev_b64 v[4:5], 3, v[3:4]
	s_waitcnt lgkmcnt(0)
	v_add_co_u32 v4, vcc_lo, s0, v4
	v_add_co_ci_u32_e64 v5, null, s1, v5, vcc_lo
	.p2align	6
.LBB6_3:                                ; =>This Inner Loop Header: Depth=1
	global_load_dwordx2 v[7:8], v[4:5], off
	v_add_nc_u32_e32 v3, 2, v3
	v_add_co_u32 v4, s1, v4, 16
	v_add_co_ci_u32_e64 v5, null, 0, v5, s1
	v_cmp_ge_i32_e64 s1, v3, v0
	s_waitcnt vmcnt(0)
	v_cmp_gt_f64_e32 vcc_lo, 0, v[7:8]
	v_xor_b32_e32 v9, 0x80000000, v8
	v_cndmask_b32_e32 v8, v8, v9, vcc_lo
	v_cmp_lt_f64_e32 vcc_lo, s[4:5], v[7:8]
	v_cmp_lt_f64_e64 s0, 0x38100000, v[7:8]
	s_and_b32 vcc_lo, vcc_lo, s0
	s_or_b32 s7, s1, s7
	v_add_co_ci_u32_e64 v6, null, 0, v6, vcc_lo
	s_andn2_b32 exec_lo, exec_lo, s7
	s_cbranch_execnz .LBB6_3
; %bb.4:
	s_or_b32 exec_lo, exec_lo, s7
.LBB6_5:
	s_or_b32 exec_lo, exec_lo, s6
	v_mbcnt_lo_u32_b32 v0, -1, 0
	v_xor_b32_e32 v3, 1, v0
	v_cmp_gt_i32_e32 vcc_lo, 32, v3
	v_cndmask_b32_e32 v3, v0, v3, vcc_lo
	v_lshl_or_b32 v0, v0, 2, 4
	v_lshlrev_b32_e32 v3, 2, v3
	ds_bpermute_b32 v3, v3, v6
	s_waitcnt lgkmcnt(0)
	v_add_nc_u32_e32 v3, v3, v6
	ds_bpermute_b32 v3, v0, v3
	v_add_co_u32 v0, vcc_lo, s2, v1
	v_add_co_ci_u32_e64 v1, null, s3, v2, vcc_lo
	s_waitcnt lgkmcnt(0)
	global_store_dword v[0:1], v3, off
.LBB6_6:
	s_endpgm
	.section	.rodata,"a",@progbits
	.p2align	6, 0x0
	.amdhsa_kernel _ZN9rocsparseL19nnz_compress_kernelILi1024ELi512ELi2EdEEvi21rocsparse_index_base_PKT2_PKiPiS2_
		.amdhsa_group_segment_fixed_size 0
		.amdhsa_private_segment_fixed_size 0
		.amdhsa_kernarg_size 40
		.amdhsa_user_sgpr_count 6
		.amdhsa_user_sgpr_private_segment_buffer 1
		.amdhsa_user_sgpr_dispatch_ptr 0
		.amdhsa_user_sgpr_queue_ptr 0
		.amdhsa_user_sgpr_kernarg_segment_ptr 1
		.amdhsa_user_sgpr_dispatch_id 0
		.amdhsa_user_sgpr_flat_scratch_init 0
		.amdhsa_user_sgpr_private_segment_size 0
		.amdhsa_wavefront_size32 1
		.amdhsa_uses_dynamic_stack 0
		.amdhsa_system_sgpr_private_segment_wavefront_offset 0
		.amdhsa_system_sgpr_workgroup_id_x 1
		.amdhsa_system_sgpr_workgroup_id_y 0
		.amdhsa_system_sgpr_workgroup_id_z 0
		.amdhsa_system_sgpr_workgroup_info 0
		.amdhsa_system_vgpr_workitem_id 0
		.amdhsa_next_free_vgpr 10
		.amdhsa_next_free_sgpr 10
		.amdhsa_reserve_vcc 1
		.amdhsa_reserve_flat_scratch 0
		.amdhsa_float_round_mode_32 0
		.amdhsa_float_round_mode_16_64 0
		.amdhsa_float_denorm_mode_32 3
		.amdhsa_float_denorm_mode_16_64 3
		.amdhsa_dx10_clamp 1
		.amdhsa_ieee_mode 1
		.amdhsa_fp16_overflow 0
		.amdhsa_workgroup_processor_mode 1
		.amdhsa_memory_ordered 1
		.amdhsa_forward_progress 1
		.amdhsa_shared_vgpr_count 0
		.amdhsa_exception_fp_ieee_invalid_op 0
		.amdhsa_exception_fp_denorm_src 0
		.amdhsa_exception_fp_ieee_div_zero 0
		.amdhsa_exception_fp_ieee_overflow 0
		.amdhsa_exception_fp_ieee_underflow 0
		.amdhsa_exception_fp_ieee_inexact 0
		.amdhsa_exception_int_div_zero 0
	.end_amdhsa_kernel
	.section	.text._ZN9rocsparseL19nnz_compress_kernelILi1024ELi512ELi2EdEEvi21rocsparse_index_base_PKT2_PKiPiS2_,"axG",@progbits,_ZN9rocsparseL19nnz_compress_kernelILi1024ELi512ELi2EdEEvi21rocsparse_index_base_PKT2_PKiPiS2_,comdat
.Lfunc_end6:
	.size	_ZN9rocsparseL19nnz_compress_kernelILi1024ELi512ELi2EdEEvi21rocsparse_index_base_PKT2_PKiPiS2_, .Lfunc_end6-_ZN9rocsparseL19nnz_compress_kernelILi1024ELi512ELi2EdEEvi21rocsparse_index_base_PKT2_PKiPiS2_
                                        ; -- End function
	.set _ZN9rocsparseL19nnz_compress_kernelILi1024ELi512ELi2EdEEvi21rocsparse_index_base_PKT2_PKiPiS2_.num_vgpr, 10
	.set _ZN9rocsparseL19nnz_compress_kernelILi1024ELi512ELi2EdEEvi21rocsparse_index_base_PKT2_PKiPiS2_.num_agpr, 0
	.set _ZN9rocsparseL19nnz_compress_kernelILi1024ELi512ELi2EdEEvi21rocsparse_index_base_PKT2_PKiPiS2_.numbered_sgpr, 10
	.set _ZN9rocsparseL19nnz_compress_kernelILi1024ELi512ELi2EdEEvi21rocsparse_index_base_PKT2_PKiPiS2_.num_named_barrier, 0
	.set _ZN9rocsparseL19nnz_compress_kernelILi1024ELi512ELi2EdEEvi21rocsparse_index_base_PKT2_PKiPiS2_.private_seg_size, 0
	.set _ZN9rocsparseL19nnz_compress_kernelILi1024ELi512ELi2EdEEvi21rocsparse_index_base_PKT2_PKiPiS2_.uses_vcc, 1
	.set _ZN9rocsparseL19nnz_compress_kernelILi1024ELi512ELi2EdEEvi21rocsparse_index_base_PKT2_PKiPiS2_.uses_flat_scratch, 0
	.set _ZN9rocsparseL19nnz_compress_kernelILi1024ELi512ELi2EdEEvi21rocsparse_index_base_PKT2_PKiPiS2_.has_dyn_sized_stack, 0
	.set _ZN9rocsparseL19nnz_compress_kernelILi1024ELi512ELi2EdEEvi21rocsparse_index_base_PKT2_PKiPiS2_.has_recursion, 0
	.set _ZN9rocsparseL19nnz_compress_kernelILi1024ELi512ELi2EdEEvi21rocsparse_index_base_PKT2_PKiPiS2_.has_indirect_call, 0
	.section	.AMDGPU.csdata,"",@progbits
; Kernel info:
; codeLenInByte = 384
; TotalNumSgprs: 12
; NumVgprs: 10
; ScratchSize: 0
; MemoryBound: 0
; FloatMode: 240
; IeeeMode: 1
; LDSByteSize: 0 bytes/workgroup (compile time only)
; SGPRBlocks: 0
; VGPRBlocks: 1
; NumSGPRsForWavesPerEU: 12
; NumVGPRsForWavesPerEU: 10
; Occupancy: 16
; WaveLimiterHint : 0
; COMPUTE_PGM_RSRC2:SCRATCH_EN: 0
; COMPUTE_PGM_RSRC2:USER_SGPR: 6
; COMPUTE_PGM_RSRC2:TRAP_HANDLER: 0
; COMPUTE_PGM_RSRC2:TGID_X_EN: 1
; COMPUTE_PGM_RSRC2:TGID_Y_EN: 0
; COMPUTE_PGM_RSRC2:TGID_Z_EN: 0
; COMPUTE_PGM_RSRC2:TIDIG_COMP_CNT: 0
	.section	.text._ZN9rocsparseL19nnz_compress_kernelILi1024ELi256ELi4EdEEvi21rocsparse_index_base_PKT2_PKiPiS2_,"axG",@progbits,_ZN9rocsparseL19nnz_compress_kernelILi1024ELi256ELi4EdEEvi21rocsparse_index_base_PKT2_PKiPiS2_,comdat
	.globl	_ZN9rocsparseL19nnz_compress_kernelILi1024ELi256ELi4EdEEvi21rocsparse_index_base_PKT2_PKiPiS2_ ; -- Begin function _ZN9rocsparseL19nnz_compress_kernelILi1024ELi256ELi4EdEEvi21rocsparse_index_base_PKT2_PKiPiS2_
	.p2align	8
	.type	_ZN9rocsparseL19nnz_compress_kernelILi1024ELi256ELi4EdEEvi21rocsparse_index_base_PKT2_PKiPiS2_,@function
_ZN9rocsparseL19nnz_compress_kernelILi1024ELi256ELi4EdEEvi21rocsparse_index_base_PKT2_PKiPiS2_: ; @_ZN9rocsparseL19nnz_compress_kernelILi1024ELi256ELi4EdEEvi21rocsparse_index_base_PKT2_PKiPiS2_
; %bb.0:
	s_load_dwordx2 s[8:9], s[4:5], 0x0
	v_lshrrev_b32_e32 v1, 2, v0
	s_mov_b32 s0, exec_lo
	v_lshl_or_b32 v1, s6, 8, v1
	s_waitcnt lgkmcnt(0)
	v_cmpx_gt_i32_e64 s8, v1
	s_cbranch_execz .LBB7_6
; %bb.1:
	s_load_dwordx4 s[0:3], s[4:5], 0x10
	v_ashrrev_i32_e32 v2, 31, v1
	v_and_b32_e32 v0, 3, v0
	s_mov_b32 s6, exec_lo
	v_lshlrev_b64 v[1:2], 2, v[1:2]
	v_subrev_nc_u32_e32 v0, s9, v0
	s_waitcnt lgkmcnt(0)
	v_add_co_u32 v3, vcc_lo, s0, v1
	v_add_co_ci_u32_e64 v4, null, s1, v2, vcc_lo
	global_load_dwordx2 v[3:4], v[3:4], off
	s_waitcnt vmcnt(0)
	v_subrev_nc_u32_e32 v6, s9, v4
	v_add_nc_u32_e32 v3, v3, v0
	v_mov_b32_e32 v0, 0
	v_cmpx_lt_i32_e64 v3, v6
	s_cbranch_execz .LBB7_5
; %bb.2:
	s_clause 0x1
	s_load_dwordx2 s[0:1], s[4:5], 0x8
	s_load_dwordx2 s[4:5], s[4:5], 0x20
	v_ashrrev_i32_e32 v4, 31, v3
	v_mov_b32_e32 v0, 0
	s_mov_b32 s7, 0
	v_lshlrev_b64 v[4:5], 3, v[3:4]
	s_waitcnt lgkmcnt(0)
	v_add_co_u32 v4, vcc_lo, s0, v4
	v_add_co_ci_u32_e64 v5, null, s1, v5, vcc_lo
	.p2align	6
.LBB7_3:                                ; =>This Inner Loop Header: Depth=1
	global_load_dwordx2 v[7:8], v[4:5], off
	v_add_nc_u32_e32 v3, 4, v3
	v_add_co_u32 v4, s1, v4, 32
	v_add_co_ci_u32_e64 v5, null, 0, v5, s1
	v_cmp_ge_i32_e64 s1, v3, v6
	s_waitcnt vmcnt(0)
	v_cmp_gt_f64_e32 vcc_lo, 0, v[7:8]
	v_xor_b32_e32 v9, 0x80000000, v8
	v_cndmask_b32_e32 v8, v8, v9, vcc_lo
	v_cmp_lt_f64_e32 vcc_lo, s[4:5], v[7:8]
	v_cmp_lt_f64_e64 s0, 0x38100000, v[7:8]
	s_and_b32 vcc_lo, vcc_lo, s0
	s_or_b32 s7, s1, s7
	v_add_co_ci_u32_e64 v0, null, 0, v0, vcc_lo
	s_andn2_b32 exec_lo, exec_lo, s7
	s_cbranch_execnz .LBB7_3
; %bb.4:
	s_or_b32 exec_lo, exec_lo, s7
.LBB7_5:
	s_or_b32 exec_lo, exec_lo, s6
	v_mbcnt_lo_u32_b32 v3, -1, 0
	v_xor_b32_e32 v4, 2, v3
	v_xor_b32_e32 v5, 1, v3
	v_cmp_gt_i32_e32 vcc_lo, 32, v4
	v_cndmask_b32_e32 v4, v3, v4, vcc_lo
	v_cmp_gt_i32_e32 vcc_lo, 32, v5
	v_lshlrev_b32_e32 v4, 2, v4
	v_cndmask_b32_e32 v5, v3, v5, vcc_lo
	v_lshl_or_b32 v3, v3, 2, 12
	ds_bpermute_b32 v4, v4, v0
	v_lshlrev_b32_e32 v5, 2, v5
	s_waitcnt lgkmcnt(0)
	v_add_nc_u32_e32 v0, v4, v0
	ds_bpermute_b32 v4, v5, v0
	s_waitcnt lgkmcnt(0)
	v_add_nc_u32_e32 v0, v4, v0
	ds_bpermute_b32 v3, v3, v0
	v_add_co_u32 v0, vcc_lo, s2, v1
	v_add_co_ci_u32_e64 v1, null, s3, v2, vcc_lo
	s_waitcnt lgkmcnt(0)
	global_store_dword v[0:1], v3, off
.LBB7_6:
	s_endpgm
	.section	.rodata,"a",@progbits
	.p2align	6, 0x0
	.amdhsa_kernel _ZN9rocsparseL19nnz_compress_kernelILi1024ELi256ELi4EdEEvi21rocsparse_index_base_PKT2_PKiPiS2_
		.amdhsa_group_segment_fixed_size 0
		.amdhsa_private_segment_fixed_size 0
		.amdhsa_kernarg_size 40
		.amdhsa_user_sgpr_count 6
		.amdhsa_user_sgpr_private_segment_buffer 1
		.amdhsa_user_sgpr_dispatch_ptr 0
		.amdhsa_user_sgpr_queue_ptr 0
		.amdhsa_user_sgpr_kernarg_segment_ptr 1
		.amdhsa_user_sgpr_dispatch_id 0
		.amdhsa_user_sgpr_flat_scratch_init 0
		.amdhsa_user_sgpr_private_segment_size 0
		.amdhsa_wavefront_size32 1
		.amdhsa_uses_dynamic_stack 0
		.amdhsa_system_sgpr_private_segment_wavefront_offset 0
		.amdhsa_system_sgpr_workgroup_id_x 1
		.amdhsa_system_sgpr_workgroup_id_y 0
		.amdhsa_system_sgpr_workgroup_id_z 0
		.amdhsa_system_sgpr_workgroup_info 0
		.amdhsa_system_vgpr_workitem_id 0
		.amdhsa_next_free_vgpr 10
		.amdhsa_next_free_sgpr 10
		.amdhsa_reserve_vcc 1
		.amdhsa_reserve_flat_scratch 0
		.amdhsa_float_round_mode_32 0
		.amdhsa_float_round_mode_16_64 0
		.amdhsa_float_denorm_mode_32 3
		.amdhsa_float_denorm_mode_16_64 3
		.amdhsa_dx10_clamp 1
		.amdhsa_ieee_mode 1
		.amdhsa_fp16_overflow 0
		.amdhsa_workgroup_processor_mode 1
		.amdhsa_memory_ordered 1
		.amdhsa_forward_progress 1
		.amdhsa_shared_vgpr_count 0
		.amdhsa_exception_fp_ieee_invalid_op 0
		.amdhsa_exception_fp_denorm_src 0
		.amdhsa_exception_fp_ieee_div_zero 0
		.amdhsa_exception_fp_ieee_overflow 0
		.amdhsa_exception_fp_ieee_underflow 0
		.amdhsa_exception_fp_ieee_inexact 0
		.amdhsa_exception_int_div_zero 0
	.end_amdhsa_kernel
	.section	.text._ZN9rocsparseL19nnz_compress_kernelILi1024ELi256ELi4EdEEvi21rocsparse_index_base_PKT2_PKiPiS2_,"axG",@progbits,_ZN9rocsparseL19nnz_compress_kernelILi1024ELi256ELi4EdEEvi21rocsparse_index_base_PKT2_PKiPiS2_,comdat
.Lfunc_end7:
	.size	_ZN9rocsparseL19nnz_compress_kernelILi1024ELi256ELi4EdEEvi21rocsparse_index_base_PKT2_PKiPiS2_, .Lfunc_end7-_ZN9rocsparseL19nnz_compress_kernelILi1024ELi256ELi4EdEEvi21rocsparse_index_base_PKT2_PKiPiS2_
                                        ; -- End function
	.set _ZN9rocsparseL19nnz_compress_kernelILi1024ELi256ELi4EdEEvi21rocsparse_index_base_PKT2_PKiPiS2_.num_vgpr, 10
	.set _ZN9rocsparseL19nnz_compress_kernelILi1024ELi256ELi4EdEEvi21rocsparse_index_base_PKT2_PKiPiS2_.num_agpr, 0
	.set _ZN9rocsparseL19nnz_compress_kernelILi1024ELi256ELi4EdEEvi21rocsparse_index_base_PKT2_PKiPiS2_.numbered_sgpr, 10
	.set _ZN9rocsparseL19nnz_compress_kernelILi1024ELi256ELi4EdEEvi21rocsparse_index_base_PKT2_PKiPiS2_.num_named_barrier, 0
	.set _ZN9rocsparseL19nnz_compress_kernelILi1024ELi256ELi4EdEEvi21rocsparse_index_base_PKT2_PKiPiS2_.private_seg_size, 0
	.set _ZN9rocsparseL19nnz_compress_kernelILi1024ELi256ELi4EdEEvi21rocsparse_index_base_PKT2_PKiPiS2_.uses_vcc, 1
	.set _ZN9rocsparseL19nnz_compress_kernelILi1024ELi256ELi4EdEEvi21rocsparse_index_base_PKT2_PKiPiS2_.uses_flat_scratch, 0
	.set _ZN9rocsparseL19nnz_compress_kernelILi1024ELi256ELi4EdEEvi21rocsparse_index_base_PKT2_PKiPiS2_.has_dyn_sized_stack, 0
	.set _ZN9rocsparseL19nnz_compress_kernelILi1024ELi256ELi4EdEEvi21rocsparse_index_base_PKT2_PKiPiS2_.has_recursion, 0
	.set _ZN9rocsparseL19nnz_compress_kernelILi1024ELi256ELi4EdEEvi21rocsparse_index_base_PKT2_PKiPiS2_.has_indirect_call, 0
	.section	.AMDGPU.csdata,"",@progbits
; Kernel info:
; codeLenInByte = 416
; TotalNumSgprs: 12
; NumVgprs: 10
; ScratchSize: 0
; MemoryBound: 0
; FloatMode: 240
; IeeeMode: 1
; LDSByteSize: 0 bytes/workgroup (compile time only)
; SGPRBlocks: 0
; VGPRBlocks: 1
; NumSGPRsForWavesPerEU: 12
; NumVGPRsForWavesPerEU: 10
; Occupancy: 16
; WaveLimiterHint : 0
; COMPUTE_PGM_RSRC2:SCRATCH_EN: 0
; COMPUTE_PGM_RSRC2:USER_SGPR: 6
; COMPUTE_PGM_RSRC2:TRAP_HANDLER: 0
; COMPUTE_PGM_RSRC2:TGID_X_EN: 1
; COMPUTE_PGM_RSRC2:TGID_Y_EN: 0
; COMPUTE_PGM_RSRC2:TGID_Z_EN: 0
; COMPUTE_PGM_RSRC2:TIDIG_COMP_CNT: 0
	.section	.text._ZN9rocsparseL19nnz_compress_kernelILi1024ELi128ELi8EdEEvi21rocsparse_index_base_PKT2_PKiPiS2_,"axG",@progbits,_ZN9rocsparseL19nnz_compress_kernelILi1024ELi128ELi8EdEEvi21rocsparse_index_base_PKT2_PKiPiS2_,comdat
	.globl	_ZN9rocsparseL19nnz_compress_kernelILi1024ELi128ELi8EdEEvi21rocsparse_index_base_PKT2_PKiPiS2_ ; -- Begin function _ZN9rocsparseL19nnz_compress_kernelILi1024ELi128ELi8EdEEvi21rocsparse_index_base_PKT2_PKiPiS2_
	.p2align	8
	.type	_ZN9rocsparseL19nnz_compress_kernelILi1024ELi128ELi8EdEEvi21rocsparse_index_base_PKT2_PKiPiS2_,@function
_ZN9rocsparseL19nnz_compress_kernelILi1024ELi128ELi8EdEEvi21rocsparse_index_base_PKT2_PKiPiS2_: ; @_ZN9rocsparseL19nnz_compress_kernelILi1024ELi128ELi8EdEEvi21rocsparse_index_base_PKT2_PKiPiS2_
; %bb.0:
	s_load_dwordx2 s[8:9], s[4:5], 0x0
	v_lshrrev_b32_e32 v1, 3, v0
	s_mov_b32 s0, exec_lo
	v_lshl_or_b32 v1, s6, 7, v1
	s_waitcnt lgkmcnt(0)
	v_cmpx_gt_i32_e64 s8, v1
	s_cbranch_execz .LBB8_6
; %bb.1:
	s_load_dwordx4 s[0:3], s[4:5], 0x10
	v_ashrrev_i32_e32 v2, 31, v1
	v_and_b32_e32 v0, 7, v0
	s_mov_b32 s6, exec_lo
	v_lshlrev_b64 v[1:2], 2, v[1:2]
	v_subrev_nc_u32_e32 v0, s9, v0
	s_waitcnt lgkmcnt(0)
	v_add_co_u32 v3, vcc_lo, s0, v1
	v_add_co_ci_u32_e64 v4, null, s1, v2, vcc_lo
	global_load_dwordx2 v[3:4], v[3:4], off
	s_waitcnt vmcnt(0)
	v_subrev_nc_u32_e32 v6, s9, v4
	v_add_nc_u32_e32 v3, v3, v0
	v_mov_b32_e32 v0, 0
	v_cmpx_lt_i32_e64 v3, v6
	s_cbranch_execz .LBB8_5
; %bb.2:
	s_clause 0x1
	s_load_dwordx2 s[0:1], s[4:5], 0x8
	s_load_dwordx2 s[4:5], s[4:5], 0x20
	v_ashrrev_i32_e32 v4, 31, v3
	v_mov_b32_e32 v0, 0
	s_mov_b32 s7, 0
	v_lshlrev_b64 v[4:5], 3, v[3:4]
	s_waitcnt lgkmcnt(0)
	v_add_co_u32 v4, vcc_lo, s0, v4
	v_add_co_ci_u32_e64 v5, null, s1, v5, vcc_lo
	.p2align	6
.LBB8_3:                                ; =>This Inner Loop Header: Depth=1
	global_load_dwordx2 v[7:8], v[4:5], off
	v_add_nc_u32_e32 v3, 8, v3
	v_add_co_u32 v4, s1, v4, 64
	v_add_co_ci_u32_e64 v5, null, 0, v5, s1
	v_cmp_ge_i32_e64 s1, v3, v6
	s_waitcnt vmcnt(0)
	v_cmp_gt_f64_e32 vcc_lo, 0, v[7:8]
	v_xor_b32_e32 v9, 0x80000000, v8
	v_cndmask_b32_e32 v8, v8, v9, vcc_lo
	v_cmp_lt_f64_e32 vcc_lo, s[4:5], v[7:8]
	v_cmp_lt_f64_e64 s0, 0x38100000, v[7:8]
	s_and_b32 vcc_lo, vcc_lo, s0
	s_or_b32 s7, s1, s7
	v_add_co_ci_u32_e64 v0, null, 0, v0, vcc_lo
	s_andn2_b32 exec_lo, exec_lo, s7
	s_cbranch_execnz .LBB8_3
; %bb.4:
	s_or_b32 exec_lo, exec_lo, s7
.LBB8_5:
	s_or_b32 exec_lo, exec_lo, s6
	v_mbcnt_lo_u32_b32 v3, -1, 0
	v_xor_b32_e32 v4, 4, v3
	v_xor_b32_e32 v5, 2, v3
	v_cmp_gt_i32_e32 vcc_lo, 32, v4
	v_cndmask_b32_e32 v4, v3, v4, vcc_lo
	v_cmp_gt_i32_e32 vcc_lo, 32, v5
	v_lshlrev_b32_e32 v4, 2, v4
	v_cndmask_b32_e32 v5, v3, v5, vcc_lo
	ds_bpermute_b32 v4, v4, v0
	v_lshlrev_b32_e32 v5, 2, v5
	s_waitcnt lgkmcnt(0)
	v_add_nc_u32_e32 v0, v4, v0
	ds_bpermute_b32 v4, v5, v0
	v_xor_b32_e32 v5, 1, v3
	v_cmp_gt_i32_e32 vcc_lo, 32, v5
	v_cndmask_b32_e32 v5, v3, v5, vcc_lo
	v_lshl_or_b32 v3, v3, 2, 28
	v_lshlrev_b32_e32 v5, 2, v5
	s_waitcnt lgkmcnt(0)
	v_add_nc_u32_e32 v0, v4, v0
	ds_bpermute_b32 v4, v5, v0
	s_waitcnt lgkmcnt(0)
	v_add_nc_u32_e32 v0, v4, v0
	ds_bpermute_b32 v3, v3, v0
	v_add_co_u32 v0, vcc_lo, s2, v1
	v_add_co_ci_u32_e64 v1, null, s3, v2, vcc_lo
	s_waitcnt lgkmcnt(0)
	global_store_dword v[0:1], v3, off
.LBB8_6:
	s_endpgm
	.section	.rodata,"a",@progbits
	.p2align	6, 0x0
	.amdhsa_kernel _ZN9rocsparseL19nnz_compress_kernelILi1024ELi128ELi8EdEEvi21rocsparse_index_base_PKT2_PKiPiS2_
		.amdhsa_group_segment_fixed_size 0
		.amdhsa_private_segment_fixed_size 0
		.amdhsa_kernarg_size 40
		.amdhsa_user_sgpr_count 6
		.amdhsa_user_sgpr_private_segment_buffer 1
		.amdhsa_user_sgpr_dispatch_ptr 0
		.amdhsa_user_sgpr_queue_ptr 0
		.amdhsa_user_sgpr_kernarg_segment_ptr 1
		.amdhsa_user_sgpr_dispatch_id 0
		.amdhsa_user_sgpr_flat_scratch_init 0
		.amdhsa_user_sgpr_private_segment_size 0
		.amdhsa_wavefront_size32 1
		.amdhsa_uses_dynamic_stack 0
		.amdhsa_system_sgpr_private_segment_wavefront_offset 0
		.amdhsa_system_sgpr_workgroup_id_x 1
		.amdhsa_system_sgpr_workgroup_id_y 0
		.amdhsa_system_sgpr_workgroup_id_z 0
		.amdhsa_system_sgpr_workgroup_info 0
		.amdhsa_system_vgpr_workitem_id 0
		.amdhsa_next_free_vgpr 10
		.amdhsa_next_free_sgpr 10
		.amdhsa_reserve_vcc 1
		.amdhsa_reserve_flat_scratch 0
		.amdhsa_float_round_mode_32 0
		.amdhsa_float_round_mode_16_64 0
		.amdhsa_float_denorm_mode_32 3
		.amdhsa_float_denorm_mode_16_64 3
		.amdhsa_dx10_clamp 1
		.amdhsa_ieee_mode 1
		.amdhsa_fp16_overflow 0
		.amdhsa_workgroup_processor_mode 1
		.amdhsa_memory_ordered 1
		.amdhsa_forward_progress 1
		.amdhsa_shared_vgpr_count 0
		.amdhsa_exception_fp_ieee_invalid_op 0
		.amdhsa_exception_fp_denorm_src 0
		.amdhsa_exception_fp_ieee_div_zero 0
		.amdhsa_exception_fp_ieee_overflow 0
		.amdhsa_exception_fp_ieee_underflow 0
		.amdhsa_exception_fp_ieee_inexact 0
		.amdhsa_exception_int_div_zero 0
	.end_amdhsa_kernel
	.section	.text._ZN9rocsparseL19nnz_compress_kernelILi1024ELi128ELi8EdEEvi21rocsparse_index_base_PKT2_PKiPiS2_,"axG",@progbits,_ZN9rocsparseL19nnz_compress_kernelILi1024ELi128ELi8EdEEvi21rocsparse_index_base_PKT2_PKiPiS2_,comdat
.Lfunc_end8:
	.size	_ZN9rocsparseL19nnz_compress_kernelILi1024ELi128ELi8EdEEvi21rocsparse_index_base_PKT2_PKiPiS2_, .Lfunc_end8-_ZN9rocsparseL19nnz_compress_kernelILi1024ELi128ELi8EdEEvi21rocsparse_index_base_PKT2_PKiPiS2_
                                        ; -- End function
	.set _ZN9rocsparseL19nnz_compress_kernelILi1024ELi128ELi8EdEEvi21rocsparse_index_base_PKT2_PKiPiS2_.num_vgpr, 10
	.set _ZN9rocsparseL19nnz_compress_kernelILi1024ELi128ELi8EdEEvi21rocsparse_index_base_PKT2_PKiPiS2_.num_agpr, 0
	.set _ZN9rocsparseL19nnz_compress_kernelILi1024ELi128ELi8EdEEvi21rocsparse_index_base_PKT2_PKiPiS2_.numbered_sgpr, 10
	.set _ZN9rocsparseL19nnz_compress_kernelILi1024ELi128ELi8EdEEvi21rocsparse_index_base_PKT2_PKiPiS2_.num_named_barrier, 0
	.set _ZN9rocsparseL19nnz_compress_kernelILi1024ELi128ELi8EdEEvi21rocsparse_index_base_PKT2_PKiPiS2_.private_seg_size, 0
	.set _ZN9rocsparseL19nnz_compress_kernelILi1024ELi128ELi8EdEEvi21rocsparse_index_base_PKT2_PKiPiS2_.uses_vcc, 1
	.set _ZN9rocsparseL19nnz_compress_kernelILi1024ELi128ELi8EdEEvi21rocsparse_index_base_PKT2_PKiPiS2_.uses_flat_scratch, 0
	.set _ZN9rocsparseL19nnz_compress_kernelILi1024ELi128ELi8EdEEvi21rocsparse_index_base_PKT2_PKiPiS2_.has_dyn_sized_stack, 0
	.set _ZN9rocsparseL19nnz_compress_kernelILi1024ELi128ELi8EdEEvi21rocsparse_index_base_PKT2_PKiPiS2_.has_recursion, 0
	.set _ZN9rocsparseL19nnz_compress_kernelILi1024ELi128ELi8EdEEvi21rocsparse_index_base_PKT2_PKiPiS2_.has_indirect_call, 0
	.section	.AMDGPU.csdata,"",@progbits
; Kernel info:
; codeLenInByte = 448
; TotalNumSgprs: 12
; NumVgprs: 10
; ScratchSize: 0
; MemoryBound: 0
; FloatMode: 240
; IeeeMode: 1
; LDSByteSize: 0 bytes/workgroup (compile time only)
; SGPRBlocks: 0
; VGPRBlocks: 1
; NumSGPRsForWavesPerEU: 12
; NumVGPRsForWavesPerEU: 10
; Occupancy: 16
; WaveLimiterHint : 0
; COMPUTE_PGM_RSRC2:SCRATCH_EN: 0
; COMPUTE_PGM_RSRC2:USER_SGPR: 6
; COMPUTE_PGM_RSRC2:TRAP_HANDLER: 0
; COMPUTE_PGM_RSRC2:TGID_X_EN: 1
; COMPUTE_PGM_RSRC2:TGID_Y_EN: 0
; COMPUTE_PGM_RSRC2:TGID_Z_EN: 0
; COMPUTE_PGM_RSRC2:TIDIG_COMP_CNT: 0
	.section	.text._ZN9rocsparseL19nnz_compress_kernelILi1024ELi64ELi16EdEEvi21rocsparse_index_base_PKT2_PKiPiS2_,"axG",@progbits,_ZN9rocsparseL19nnz_compress_kernelILi1024ELi64ELi16EdEEvi21rocsparse_index_base_PKT2_PKiPiS2_,comdat
	.globl	_ZN9rocsparseL19nnz_compress_kernelILi1024ELi64ELi16EdEEvi21rocsparse_index_base_PKT2_PKiPiS2_ ; -- Begin function _ZN9rocsparseL19nnz_compress_kernelILi1024ELi64ELi16EdEEvi21rocsparse_index_base_PKT2_PKiPiS2_
	.p2align	8
	.type	_ZN9rocsparseL19nnz_compress_kernelILi1024ELi64ELi16EdEEvi21rocsparse_index_base_PKT2_PKiPiS2_,@function
_ZN9rocsparseL19nnz_compress_kernelILi1024ELi64ELi16EdEEvi21rocsparse_index_base_PKT2_PKiPiS2_: ; @_ZN9rocsparseL19nnz_compress_kernelILi1024ELi64ELi16EdEEvi21rocsparse_index_base_PKT2_PKiPiS2_
; %bb.0:
	s_load_dwordx2 s[8:9], s[4:5], 0x0
	v_lshrrev_b32_e32 v1, 4, v0
	s_mov_b32 s0, exec_lo
	v_lshl_or_b32 v1, s6, 6, v1
	s_waitcnt lgkmcnt(0)
	v_cmpx_gt_i32_e64 s8, v1
	s_cbranch_execz .LBB9_6
; %bb.1:
	s_load_dwordx4 s[0:3], s[4:5], 0x10
	v_ashrrev_i32_e32 v2, 31, v1
	v_and_b32_e32 v0, 15, v0
	s_mov_b32 s6, exec_lo
	v_lshlrev_b64 v[1:2], 2, v[1:2]
	v_subrev_nc_u32_e32 v0, s9, v0
	s_waitcnt lgkmcnt(0)
	v_add_co_u32 v3, vcc_lo, s0, v1
	v_add_co_ci_u32_e64 v4, null, s1, v2, vcc_lo
	global_load_dwordx2 v[3:4], v[3:4], off
	s_waitcnt vmcnt(0)
	v_subrev_nc_u32_e32 v6, s9, v4
	v_add_nc_u32_e32 v3, v3, v0
	v_mov_b32_e32 v0, 0
	v_cmpx_lt_i32_e64 v3, v6
	s_cbranch_execz .LBB9_5
; %bb.2:
	s_clause 0x1
	s_load_dwordx2 s[0:1], s[4:5], 0x8
	s_load_dwordx2 s[4:5], s[4:5], 0x20
	v_ashrrev_i32_e32 v4, 31, v3
	v_mov_b32_e32 v0, 0
	s_mov_b32 s7, 0
	v_lshlrev_b64 v[4:5], 3, v[3:4]
	s_waitcnt lgkmcnt(0)
	v_add_co_u32 v4, vcc_lo, s0, v4
	v_add_co_ci_u32_e64 v5, null, s1, v5, vcc_lo
	.p2align	6
.LBB9_3:                                ; =>This Inner Loop Header: Depth=1
	global_load_dwordx2 v[7:8], v[4:5], off
	v_add_nc_u32_e32 v3, 16, v3
	v_add_co_u32 v4, s1, 0x80, v4
	v_add_co_ci_u32_e64 v5, null, 0, v5, s1
	v_cmp_ge_i32_e64 s1, v3, v6
	s_waitcnt vmcnt(0)
	v_cmp_gt_f64_e32 vcc_lo, 0, v[7:8]
	v_xor_b32_e32 v9, 0x80000000, v8
	v_cndmask_b32_e32 v8, v8, v9, vcc_lo
	v_cmp_lt_f64_e32 vcc_lo, s[4:5], v[7:8]
	v_cmp_lt_f64_e64 s0, 0x38100000, v[7:8]
	s_and_b32 vcc_lo, vcc_lo, s0
	s_or_b32 s7, s1, s7
	v_add_co_ci_u32_e64 v0, null, 0, v0, vcc_lo
	s_andn2_b32 exec_lo, exec_lo, s7
	s_cbranch_execnz .LBB9_3
; %bb.4:
	s_or_b32 exec_lo, exec_lo, s7
.LBB9_5:
	s_or_b32 exec_lo, exec_lo, s6
	v_mbcnt_lo_u32_b32 v3, -1, 0
	v_xor_b32_e32 v4, 8, v3
	v_xor_b32_e32 v5, 4, v3
	v_cmp_gt_i32_e32 vcc_lo, 32, v4
	v_cndmask_b32_e32 v4, v3, v4, vcc_lo
	v_cmp_gt_i32_e32 vcc_lo, 32, v5
	v_lshlrev_b32_e32 v4, 2, v4
	v_cndmask_b32_e32 v5, v3, v5, vcc_lo
	ds_bpermute_b32 v4, v4, v0
	v_lshlrev_b32_e32 v5, 2, v5
	s_waitcnt lgkmcnt(0)
	v_add_nc_u32_e32 v0, v4, v0
	ds_bpermute_b32 v4, v5, v0
	v_xor_b32_e32 v5, 2, v3
	v_cmp_gt_i32_e32 vcc_lo, 32, v5
	v_cndmask_b32_e32 v5, v3, v5, vcc_lo
	v_lshlrev_b32_e32 v5, 2, v5
	s_waitcnt lgkmcnt(0)
	v_add_nc_u32_e32 v0, v4, v0
	ds_bpermute_b32 v4, v5, v0
	v_xor_b32_e32 v5, 1, v3
	v_cmp_gt_i32_e32 vcc_lo, 32, v5
	v_cndmask_b32_e32 v5, v3, v5, vcc_lo
	v_lshl_or_b32 v3, v3, 2, 60
	v_lshlrev_b32_e32 v5, 2, v5
	s_waitcnt lgkmcnt(0)
	v_add_nc_u32_e32 v0, v4, v0
	ds_bpermute_b32 v4, v5, v0
	s_waitcnt lgkmcnt(0)
	v_add_nc_u32_e32 v0, v4, v0
	ds_bpermute_b32 v3, v3, v0
	v_add_co_u32 v0, vcc_lo, s2, v1
	v_add_co_ci_u32_e64 v1, null, s3, v2, vcc_lo
	s_waitcnt lgkmcnt(0)
	global_store_dword v[0:1], v3, off
.LBB9_6:
	s_endpgm
	.section	.rodata,"a",@progbits
	.p2align	6, 0x0
	.amdhsa_kernel _ZN9rocsparseL19nnz_compress_kernelILi1024ELi64ELi16EdEEvi21rocsparse_index_base_PKT2_PKiPiS2_
		.amdhsa_group_segment_fixed_size 0
		.amdhsa_private_segment_fixed_size 0
		.amdhsa_kernarg_size 40
		.amdhsa_user_sgpr_count 6
		.amdhsa_user_sgpr_private_segment_buffer 1
		.amdhsa_user_sgpr_dispatch_ptr 0
		.amdhsa_user_sgpr_queue_ptr 0
		.amdhsa_user_sgpr_kernarg_segment_ptr 1
		.amdhsa_user_sgpr_dispatch_id 0
		.amdhsa_user_sgpr_flat_scratch_init 0
		.amdhsa_user_sgpr_private_segment_size 0
		.amdhsa_wavefront_size32 1
		.amdhsa_uses_dynamic_stack 0
		.amdhsa_system_sgpr_private_segment_wavefront_offset 0
		.amdhsa_system_sgpr_workgroup_id_x 1
		.amdhsa_system_sgpr_workgroup_id_y 0
		.amdhsa_system_sgpr_workgroup_id_z 0
		.amdhsa_system_sgpr_workgroup_info 0
		.amdhsa_system_vgpr_workitem_id 0
		.amdhsa_next_free_vgpr 10
		.amdhsa_next_free_sgpr 10
		.amdhsa_reserve_vcc 1
		.amdhsa_reserve_flat_scratch 0
		.amdhsa_float_round_mode_32 0
		.amdhsa_float_round_mode_16_64 0
		.amdhsa_float_denorm_mode_32 3
		.amdhsa_float_denorm_mode_16_64 3
		.amdhsa_dx10_clamp 1
		.amdhsa_ieee_mode 1
		.amdhsa_fp16_overflow 0
		.amdhsa_workgroup_processor_mode 1
		.amdhsa_memory_ordered 1
		.amdhsa_forward_progress 1
		.amdhsa_shared_vgpr_count 0
		.amdhsa_exception_fp_ieee_invalid_op 0
		.amdhsa_exception_fp_denorm_src 0
		.amdhsa_exception_fp_ieee_div_zero 0
		.amdhsa_exception_fp_ieee_overflow 0
		.amdhsa_exception_fp_ieee_underflow 0
		.amdhsa_exception_fp_ieee_inexact 0
		.amdhsa_exception_int_div_zero 0
	.end_amdhsa_kernel
	.section	.text._ZN9rocsparseL19nnz_compress_kernelILi1024ELi64ELi16EdEEvi21rocsparse_index_base_PKT2_PKiPiS2_,"axG",@progbits,_ZN9rocsparseL19nnz_compress_kernelILi1024ELi64ELi16EdEEvi21rocsparse_index_base_PKT2_PKiPiS2_,comdat
.Lfunc_end9:
	.size	_ZN9rocsparseL19nnz_compress_kernelILi1024ELi64ELi16EdEEvi21rocsparse_index_base_PKT2_PKiPiS2_, .Lfunc_end9-_ZN9rocsparseL19nnz_compress_kernelILi1024ELi64ELi16EdEEvi21rocsparse_index_base_PKT2_PKiPiS2_
                                        ; -- End function
	.set _ZN9rocsparseL19nnz_compress_kernelILi1024ELi64ELi16EdEEvi21rocsparse_index_base_PKT2_PKiPiS2_.num_vgpr, 10
	.set _ZN9rocsparseL19nnz_compress_kernelILi1024ELi64ELi16EdEEvi21rocsparse_index_base_PKT2_PKiPiS2_.num_agpr, 0
	.set _ZN9rocsparseL19nnz_compress_kernelILi1024ELi64ELi16EdEEvi21rocsparse_index_base_PKT2_PKiPiS2_.numbered_sgpr, 10
	.set _ZN9rocsparseL19nnz_compress_kernelILi1024ELi64ELi16EdEEvi21rocsparse_index_base_PKT2_PKiPiS2_.num_named_barrier, 0
	.set _ZN9rocsparseL19nnz_compress_kernelILi1024ELi64ELi16EdEEvi21rocsparse_index_base_PKT2_PKiPiS2_.private_seg_size, 0
	.set _ZN9rocsparseL19nnz_compress_kernelILi1024ELi64ELi16EdEEvi21rocsparse_index_base_PKT2_PKiPiS2_.uses_vcc, 1
	.set _ZN9rocsparseL19nnz_compress_kernelILi1024ELi64ELi16EdEEvi21rocsparse_index_base_PKT2_PKiPiS2_.uses_flat_scratch, 0
	.set _ZN9rocsparseL19nnz_compress_kernelILi1024ELi64ELi16EdEEvi21rocsparse_index_base_PKT2_PKiPiS2_.has_dyn_sized_stack, 0
	.set _ZN9rocsparseL19nnz_compress_kernelILi1024ELi64ELi16EdEEvi21rocsparse_index_base_PKT2_PKiPiS2_.has_recursion, 0
	.set _ZN9rocsparseL19nnz_compress_kernelILi1024ELi64ELi16EdEEvi21rocsparse_index_base_PKT2_PKiPiS2_.has_indirect_call, 0
	.section	.AMDGPU.csdata,"",@progbits
; Kernel info:
; codeLenInByte = 484
; TotalNumSgprs: 12
; NumVgprs: 10
; ScratchSize: 0
; MemoryBound: 0
; FloatMode: 240
; IeeeMode: 1
; LDSByteSize: 0 bytes/workgroup (compile time only)
; SGPRBlocks: 0
; VGPRBlocks: 1
; NumSGPRsForWavesPerEU: 12
; NumVGPRsForWavesPerEU: 10
; Occupancy: 16
; WaveLimiterHint : 0
; COMPUTE_PGM_RSRC2:SCRATCH_EN: 0
; COMPUTE_PGM_RSRC2:USER_SGPR: 6
; COMPUTE_PGM_RSRC2:TRAP_HANDLER: 0
; COMPUTE_PGM_RSRC2:TGID_X_EN: 1
; COMPUTE_PGM_RSRC2:TGID_Y_EN: 0
; COMPUTE_PGM_RSRC2:TGID_Z_EN: 0
; COMPUTE_PGM_RSRC2:TIDIG_COMP_CNT: 0
	.section	.text._ZN9rocsparseL19nnz_compress_kernelILi1024ELi32ELi32EdEEvi21rocsparse_index_base_PKT2_PKiPiS2_,"axG",@progbits,_ZN9rocsparseL19nnz_compress_kernelILi1024ELi32ELi32EdEEvi21rocsparse_index_base_PKT2_PKiPiS2_,comdat
	.globl	_ZN9rocsparseL19nnz_compress_kernelILi1024ELi32ELi32EdEEvi21rocsparse_index_base_PKT2_PKiPiS2_ ; -- Begin function _ZN9rocsparseL19nnz_compress_kernelILi1024ELi32ELi32EdEEvi21rocsparse_index_base_PKT2_PKiPiS2_
	.p2align	8
	.type	_ZN9rocsparseL19nnz_compress_kernelILi1024ELi32ELi32EdEEvi21rocsparse_index_base_PKT2_PKiPiS2_,@function
_ZN9rocsparseL19nnz_compress_kernelILi1024ELi32ELi32EdEEvi21rocsparse_index_base_PKT2_PKiPiS2_: ; @_ZN9rocsparseL19nnz_compress_kernelILi1024ELi32ELi32EdEEvi21rocsparse_index_base_PKT2_PKiPiS2_
; %bb.0:
	s_load_dwordx2 s[8:9], s[4:5], 0x0
	v_lshrrev_b32_e32 v1, 5, v0
	s_mov_b32 s0, exec_lo
	v_lshl_or_b32 v1, s6, 5, v1
	s_waitcnt lgkmcnt(0)
	v_cmpx_gt_i32_e64 s8, v1
	s_cbranch_execz .LBB10_6
; %bb.1:
	s_load_dwordx4 s[0:3], s[4:5], 0x10
	v_ashrrev_i32_e32 v2, 31, v1
	v_and_b32_e32 v0, 31, v0
	s_mov_b32 s6, exec_lo
	v_lshlrev_b64 v[1:2], 2, v[1:2]
	v_subrev_nc_u32_e32 v0, s9, v0
	s_waitcnt lgkmcnt(0)
	v_add_co_u32 v3, vcc_lo, s0, v1
	v_add_co_ci_u32_e64 v4, null, s1, v2, vcc_lo
	global_load_dwordx2 v[3:4], v[3:4], off
	s_waitcnt vmcnt(0)
	v_subrev_nc_u32_e32 v6, s9, v4
	v_add_nc_u32_e32 v3, v3, v0
	v_mov_b32_e32 v0, 0
	v_cmpx_lt_i32_e64 v3, v6
	s_cbranch_execz .LBB10_5
; %bb.2:
	s_clause 0x1
	s_load_dwordx2 s[0:1], s[4:5], 0x8
	s_load_dwordx2 s[4:5], s[4:5], 0x20
	v_ashrrev_i32_e32 v4, 31, v3
	v_mov_b32_e32 v0, 0
	s_mov_b32 s7, 0
	v_lshlrev_b64 v[4:5], 3, v[3:4]
	s_waitcnt lgkmcnt(0)
	v_add_co_u32 v4, vcc_lo, s0, v4
	v_add_co_ci_u32_e64 v5, null, s1, v5, vcc_lo
	.p2align	6
.LBB10_3:                               ; =>This Inner Loop Header: Depth=1
	global_load_dwordx2 v[7:8], v[4:5], off
	v_add_nc_u32_e32 v3, 32, v3
	v_add_co_u32 v4, s1, 0x100, v4
	v_add_co_ci_u32_e64 v5, null, 0, v5, s1
	v_cmp_ge_i32_e64 s1, v3, v6
	s_waitcnt vmcnt(0)
	v_cmp_gt_f64_e32 vcc_lo, 0, v[7:8]
	v_xor_b32_e32 v9, 0x80000000, v8
	v_cndmask_b32_e32 v8, v8, v9, vcc_lo
	v_cmp_lt_f64_e32 vcc_lo, s[4:5], v[7:8]
	v_cmp_lt_f64_e64 s0, 0x38100000, v[7:8]
	s_and_b32 vcc_lo, vcc_lo, s0
	s_or_b32 s7, s1, s7
	v_add_co_ci_u32_e64 v0, null, 0, v0, vcc_lo
	s_andn2_b32 exec_lo, exec_lo, s7
	s_cbranch_execnz .LBB10_3
; %bb.4:
	s_or_b32 exec_lo, exec_lo, s7
.LBB10_5:
	s_or_b32 exec_lo, exec_lo, s6
	v_mbcnt_lo_u32_b32 v3, -1, 0
	v_xor_b32_e32 v4, 16, v3
	v_xor_b32_e32 v5, 8, v3
	v_cmp_gt_i32_e32 vcc_lo, 32, v4
	v_cndmask_b32_e32 v4, v3, v4, vcc_lo
	v_cmp_gt_i32_e32 vcc_lo, 32, v5
	v_lshlrev_b32_e32 v4, 2, v4
	v_cndmask_b32_e32 v5, v3, v5, vcc_lo
	ds_bpermute_b32 v4, v4, v0
	v_lshlrev_b32_e32 v5, 2, v5
	s_waitcnt lgkmcnt(0)
	v_add_nc_u32_e32 v0, v4, v0
	ds_bpermute_b32 v4, v5, v0
	v_xor_b32_e32 v5, 4, v3
	v_cmp_gt_i32_e32 vcc_lo, 32, v5
	v_cndmask_b32_e32 v5, v3, v5, vcc_lo
	v_lshlrev_b32_e32 v5, 2, v5
	s_waitcnt lgkmcnt(0)
	v_add_nc_u32_e32 v0, v4, v0
	ds_bpermute_b32 v4, v5, v0
	v_xor_b32_e32 v5, 2, v3
	v_cmp_gt_i32_e32 vcc_lo, 32, v5
	v_cndmask_b32_e32 v5, v3, v5, vcc_lo
	;; [unrolled: 7-line block ×3, first 2 shown]
	v_lshlrev_b32_e32 v3, 2, v3
	s_waitcnt lgkmcnt(0)
	v_add_nc_u32_e32 v0, v4, v0
	ds_bpermute_b32 v3, v3, v0
	s_waitcnt lgkmcnt(0)
	v_add_nc_u32_e32 v0, v3, v0
	v_mov_b32_e32 v3, 0
	ds_bpermute_b32 v3, v3, v0 offset:124
	v_add_co_u32 v0, vcc_lo, s2, v1
	v_add_co_ci_u32_e64 v1, null, s3, v2, vcc_lo
	s_waitcnt lgkmcnt(0)
	global_store_dword v[0:1], v3, off
.LBB10_6:
	s_endpgm
	.section	.rodata,"a",@progbits
	.p2align	6, 0x0
	.amdhsa_kernel _ZN9rocsparseL19nnz_compress_kernelILi1024ELi32ELi32EdEEvi21rocsparse_index_base_PKT2_PKiPiS2_
		.amdhsa_group_segment_fixed_size 0
		.amdhsa_private_segment_fixed_size 0
		.amdhsa_kernarg_size 40
		.amdhsa_user_sgpr_count 6
		.amdhsa_user_sgpr_private_segment_buffer 1
		.amdhsa_user_sgpr_dispatch_ptr 0
		.amdhsa_user_sgpr_queue_ptr 0
		.amdhsa_user_sgpr_kernarg_segment_ptr 1
		.amdhsa_user_sgpr_dispatch_id 0
		.amdhsa_user_sgpr_flat_scratch_init 0
		.amdhsa_user_sgpr_private_segment_size 0
		.amdhsa_wavefront_size32 1
		.amdhsa_uses_dynamic_stack 0
		.amdhsa_system_sgpr_private_segment_wavefront_offset 0
		.amdhsa_system_sgpr_workgroup_id_x 1
		.amdhsa_system_sgpr_workgroup_id_y 0
		.amdhsa_system_sgpr_workgroup_id_z 0
		.amdhsa_system_sgpr_workgroup_info 0
		.amdhsa_system_vgpr_workitem_id 0
		.amdhsa_next_free_vgpr 10
		.amdhsa_next_free_sgpr 10
		.amdhsa_reserve_vcc 1
		.amdhsa_reserve_flat_scratch 0
		.amdhsa_float_round_mode_32 0
		.amdhsa_float_round_mode_16_64 0
		.amdhsa_float_denorm_mode_32 3
		.amdhsa_float_denorm_mode_16_64 3
		.amdhsa_dx10_clamp 1
		.amdhsa_ieee_mode 1
		.amdhsa_fp16_overflow 0
		.amdhsa_workgroup_processor_mode 1
		.amdhsa_memory_ordered 1
		.amdhsa_forward_progress 1
		.amdhsa_shared_vgpr_count 0
		.amdhsa_exception_fp_ieee_invalid_op 0
		.amdhsa_exception_fp_denorm_src 0
		.amdhsa_exception_fp_ieee_div_zero 0
		.amdhsa_exception_fp_ieee_overflow 0
		.amdhsa_exception_fp_ieee_underflow 0
		.amdhsa_exception_fp_ieee_inexact 0
		.amdhsa_exception_int_div_zero 0
	.end_amdhsa_kernel
	.section	.text._ZN9rocsparseL19nnz_compress_kernelILi1024ELi32ELi32EdEEvi21rocsparse_index_base_PKT2_PKiPiS2_,"axG",@progbits,_ZN9rocsparseL19nnz_compress_kernelILi1024ELi32ELi32EdEEvi21rocsparse_index_base_PKT2_PKiPiS2_,comdat
.Lfunc_end10:
	.size	_ZN9rocsparseL19nnz_compress_kernelILi1024ELi32ELi32EdEEvi21rocsparse_index_base_PKT2_PKiPiS2_, .Lfunc_end10-_ZN9rocsparseL19nnz_compress_kernelILi1024ELi32ELi32EdEEvi21rocsparse_index_base_PKT2_PKiPiS2_
                                        ; -- End function
	.set _ZN9rocsparseL19nnz_compress_kernelILi1024ELi32ELi32EdEEvi21rocsparse_index_base_PKT2_PKiPiS2_.num_vgpr, 10
	.set _ZN9rocsparseL19nnz_compress_kernelILi1024ELi32ELi32EdEEvi21rocsparse_index_base_PKT2_PKiPiS2_.num_agpr, 0
	.set _ZN9rocsparseL19nnz_compress_kernelILi1024ELi32ELi32EdEEvi21rocsparse_index_base_PKT2_PKiPiS2_.numbered_sgpr, 10
	.set _ZN9rocsparseL19nnz_compress_kernelILi1024ELi32ELi32EdEEvi21rocsparse_index_base_PKT2_PKiPiS2_.num_named_barrier, 0
	.set _ZN9rocsparseL19nnz_compress_kernelILi1024ELi32ELi32EdEEvi21rocsparse_index_base_PKT2_PKiPiS2_.private_seg_size, 0
	.set _ZN9rocsparseL19nnz_compress_kernelILi1024ELi32ELi32EdEEvi21rocsparse_index_base_PKT2_PKiPiS2_.uses_vcc, 1
	.set _ZN9rocsparseL19nnz_compress_kernelILi1024ELi32ELi32EdEEvi21rocsparse_index_base_PKT2_PKiPiS2_.uses_flat_scratch, 0
	.set _ZN9rocsparseL19nnz_compress_kernelILi1024ELi32ELi32EdEEvi21rocsparse_index_base_PKT2_PKiPiS2_.has_dyn_sized_stack, 0
	.set _ZN9rocsparseL19nnz_compress_kernelILi1024ELi32ELi32EdEEvi21rocsparse_index_base_PKT2_PKiPiS2_.has_recursion, 0
	.set _ZN9rocsparseL19nnz_compress_kernelILi1024ELi32ELi32EdEEvi21rocsparse_index_base_PKT2_PKiPiS2_.has_indirect_call, 0
	.section	.AMDGPU.csdata,"",@progbits
; Kernel info:
; codeLenInByte = 512
; TotalNumSgprs: 12
; NumVgprs: 10
; ScratchSize: 0
; MemoryBound: 0
; FloatMode: 240
; IeeeMode: 1
; LDSByteSize: 0 bytes/workgroup (compile time only)
; SGPRBlocks: 0
; VGPRBlocks: 1
; NumSGPRsForWavesPerEU: 12
; NumVGPRsForWavesPerEU: 10
; Occupancy: 16
; WaveLimiterHint : 0
; COMPUTE_PGM_RSRC2:SCRATCH_EN: 0
; COMPUTE_PGM_RSRC2:USER_SGPR: 6
; COMPUTE_PGM_RSRC2:TRAP_HANDLER: 0
; COMPUTE_PGM_RSRC2:TGID_X_EN: 1
; COMPUTE_PGM_RSRC2:TGID_Y_EN: 0
; COMPUTE_PGM_RSRC2:TGID_Z_EN: 0
; COMPUTE_PGM_RSRC2:TIDIG_COMP_CNT: 0
	.section	.text._ZN9rocsparseL19nnz_compress_kernelILi1024ELi16ELi64EdEEvi21rocsparse_index_base_PKT2_PKiPiS2_,"axG",@progbits,_ZN9rocsparseL19nnz_compress_kernelILi1024ELi16ELi64EdEEvi21rocsparse_index_base_PKT2_PKiPiS2_,comdat
	.globl	_ZN9rocsparseL19nnz_compress_kernelILi1024ELi16ELi64EdEEvi21rocsparse_index_base_PKT2_PKiPiS2_ ; -- Begin function _ZN9rocsparseL19nnz_compress_kernelILi1024ELi16ELi64EdEEvi21rocsparse_index_base_PKT2_PKiPiS2_
	.p2align	8
	.type	_ZN9rocsparseL19nnz_compress_kernelILi1024ELi16ELi64EdEEvi21rocsparse_index_base_PKT2_PKiPiS2_,@function
_ZN9rocsparseL19nnz_compress_kernelILi1024ELi16ELi64EdEEvi21rocsparse_index_base_PKT2_PKiPiS2_: ; @_ZN9rocsparseL19nnz_compress_kernelILi1024ELi16ELi64EdEEvi21rocsparse_index_base_PKT2_PKiPiS2_
; %bb.0:
	s_load_dwordx2 s[8:9], s[4:5], 0x0
	v_lshrrev_b32_e32 v1, 6, v0
	s_mov_b32 s0, exec_lo
	v_lshl_or_b32 v1, s6, 4, v1
	s_waitcnt lgkmcnt(0)
	v_cmpx_gt_i32_e64 s8, v1
	s_cbranch_execz .LBB11_6
; %bb.1:
	s_load_dwordx4 s[0:3], s[4:5], 0x10
	v_ashrrev_i32_e32 v2, 31, v1
	v_and_b32_e32 v0, 63, v0
	s_mov_b32 s6, exec_lo
	v_lshlrev_b64 v[1:2], 2, v[1:2]
	v_subrev_nc_u32_e32 v0, s9, v0
	s_waitcnt lgkmcnt(0)
	v_add_co_u32 v3, vcc_lo, s0, v1
	v_add_co_ci_u32_e64 v4, null, s1, v2, vcc_lo
	global_load_dwordx2 v[3:4], v[3:4], off
	s_waitcnt vmcnt(0)
	v_subrev_nc_u32_e32 v6, s9, v4
	v_add_nc_u32_e32 v3, v3, v0
	v_mov_b32_e32 v0, 0
	v_cmpx_lt_i32_e64 v3, v6
	s_cbranch_execz .LBB11_5
; %bb.2:
	s_clause 0x1
	s_load_dwordx2 s[0:1], s[4:5], 0x8
	s_load_dwordx2 s[4:5], s[4:5], 0x20
	v_ashrrev_i32_e32 v4, 31, v3
	v_mov_b32_e32 v0, 0
	s_mov_b32 s7, 0
	v_lshlrev_b64 v[4:5], 3, v[3:4]
	s_waitcnt lgkmcnt(0)
	v_add_co_u32 v4, vcc_lo, s0, v4
	v_add_co_ci_u32_e64 v5, null, s1, v5, vcc_lo
	.p2align	6
.LBB11_3:                               ; =>This Inner Loop Header: Depth=1
	global_load_dwordx2 v[7:8], v[4:5], off
	v_add_nc_u32_e32 v3, 64, v3
	v_add_co_u32 v4, s1, 0x200, v4
	v_add_co_ci_u32_e64 v5, null, 0, v5, s1
	v_cmp_ge_i32_e64 s1, v3, v6
	s_waitcnt vmcnt(0)
	v_cmp_gt_f64_e32 vcc_lo, 0, v[7:8]
	v_xor_b32_e32 v9, 0x80000000, v8
	v_cndmask_b32_e32 v8, v8, v9, vcc_lo
	v_cmp_lt_f64_e32 vcc_lo, s[4:5], v[7:8]
	v_cmp_lt_f64_e64 s0, 0x38100000, v[7:8]
	s_and_b32 vcc_lo, vcc_lo, s0
	s_or_b32 s7, s1, s7
	v_add_co_ci_u32_e64 v0, null, 0, v0, vcc_lo
	s_andn2_b32 exec_lo, exec_lo, s7
	s_cbranch_execnz .LBB11_3
; %bb.4:
	s_or_b32 exec_lo, exec_lo, s7
.LBB11_5:
	s_or_b32 exec_lo, exec_lo, s6
	v_mbcnt_lo_u32_b32 v3, -1, 0
	v_or_b32_e32 v4, 32, v3
	v_xor_b32_e32 v5, 16, v3
	v_cmp_gt_i32_e32 vcc_lo, 32, v4
	v_cndmask_b32_e32 v4, v3, v4, vcc_lo
	v_cmp_gt_i32_e32 vcc_lo, 32, v5
	v_lshlrev_b32_e32 v4, 2, v4
	v_cndmask_b32_e32 v5, v3, v5, vcc_lo
	ds_bpermute_b32 v4, v4, v0
	v_lshlrev_b32_e32 v5, 2, v5
	s_waitcnt lgkmcnt(0)
	v_add_nc_u32_e32 v0, v4, v0
	ds_bpermute_b32 v4, v5, v0
	v_xor_b32_e32 v5, 8, v3
	v_cmp_gt_i32_e32 vcc_lo, 32, v5
	v_cndmask_b32_e32 v5, v3, v5, vcc_lo
	v_lshlrev_b32_e32 v5, 2, v5
	s_waitcnt lgkmcnt(0)
	v_add_nc_u32_e32 v0, v4, v0
	ds_bpermute_b32 v4, v5, v0
	v_xor_b32_e32 v5, 4, v3
	v_cmp_gt_i32_e32 vcc_lo, 32, v5
	v_cndmask_b32_e32 v5, v3, v5, vcc_lo
	;; [unrolled: 7-line block ×4, first 2 shown]
	v_lshlrev_b32_e32 v3, 2, v3
	s_waitcnt lgkmcnt(0)
	v_add_nc_u32_e32 v0, v4, v0
	ds_bpermute_b32 v3, v3, v0
	s_waitcnt lgkmcnt(0)
	v_add_nc_u32_e32 v0, v3, v0
	v_mov_b32_e32 v3, 0
	ds_bpermute_b32 v3, v3, v0 offset:252
	v_add_co_u32 v0, vcc_lo, s2, v1
	v_add_co_ci_u32_e64 v1, null, s3, v2, vcc_lo
	s_waitcnt lgkmcnt(0)
	global_store_dword v[0:1], v3, off
.LBB11_6:
	s_endpgm
	.section	.rodata,"a",@progbits
	.p2align	6, 0x0
	.amdhsa_kernel _ZN9rocsparseL19nnz_compress_kernelILi1024ELi16ELi64EdEEvi21rocsparse_index_base_PKT2_PKiPiS2_
		.amdhsa_group_segment_fixed_size 0
		.amdhsa_private_segment_fixed_size 0
		.amdhsa_kernarg_size 40
		.amdhsa_user_sgpr_count 6
		.amdhsa_user_sgpr_private_segment_buffer 1
		.amdhsa_user_sgpr_dispatch_ptr 0
		.amdhsa_user_sgpr_queue_ptr 0
		.amdhsa_user_sgpr_kernarg_segment_ptr 1
		.amdhsa_user_sgpr_dispatch_id 0
		.amdhsa_user_sgpr_flat_scratch_init 0
		.amdhsa_user_sgpr_private_segment_size 0
		.amdhsa_wavefront_size32 1
		.amdhsa_uses_dynamic_stack 0
		.amdhsa_system_sgpr_private_segment_wavefront_offset 0
		.amdhsa_system_sgpr_workgroup_id_x 1
		.amdhsa_system_sgpr_workgroup_id_y 0
		.amdhsa_system_sgpr_workgroup_id_z 0
		.amdhsa_system_sgpr_workgroup_info 0
		.amdhsa_system_vgpr_workitem_id 0
		.amdhsa_next_free_vgpr 10
		.amdhsa_next_free_sgpr 10
		.amdhsa_reserve_vcc 1
		.amdhsa_reserve_flat_scratch 0
		.amdhsa_float_round_mode_32 0
		.amdhsa_float_round_mode_16_64 0
		.amdhsa_float_denorm_mode_32 3
		.amdhsa_float_denorm_mode_16_64 3
		.amdhsa_dx10_clamp 1
		.amdhsa_ieee_mode 1
		.amdhsa_fp16_overflow 0
		.amdhsa_workgroup_processor_mode 1
		.amdhsa_memory_ordered 1
		.amdhsa_forward_progress 1
		.amdhsa_shared_vgpr_count 0
		.amdhsa_exception_fp_ieee_invalid_op 0
		.amdhsa_exception_fp_denorm_src 0
		.amdhsa_exception_fp_ieee_div_zero 0
		.amdhsa_exception_fp_ieee_overflow 0
		.amdhsa_exception_fp_ieee_underflow 0
		.amdhsa_exception_fp_ieee_inexact 0
		.amdhsa_exception_int_div_zero 0
	.end_amdhsa_kernel
	.section	.text._ZN9rocsparseL19nnz_compress_kernelILi1024ELi16ELi64EdEEvi21rocsparse_index_base_PKT2_PKiPiS2_,"axG",@progbits,_ZN9rocsparseL19nnz_compress_kernelILi1024ELi16ELi64EdEEvi21rocsparse_index_base_PKT2_PKiPiS2_,comdat
.Lfunc_end11:
	.size	_ZN9rocsparseL19nnz_compress_kernelILi1024ELi16ELi64EdEEvi21rocsparse_index_base_PKT2_PKiPiS2_, .Lfunc_end11-_ZN9rocsparseL19nnz_compress_kernelILi1024ELi16ELi64EdEEvi21rocsparse_index_base_PKT2_PKiPiS2_
                                        ; -- End function
	.set _ZN9rocsparseL19nnz_compress_kernelILi1024ELi16ELi64EdEEvi21rocsparse_index_base_PKT2_PKiPiS2_.num_vgpr, 10
	.set _ZN9rocsparseL19nnz_compress_kernelILi1024ELi16ELi64EdEEvi21rocsparse_index_base_PKT2_PKiPiS2_.num_agpr, 0
	.set _ZN9rocsparseL19nnz_compress_kernelILi1024ELi16ELi64EdEEvi21rocsparse_index_base_PKT2_PKiPiS2_.numbered_sgpr, 10
	.set _ZN9rocsparseL19nnz_compress_kernelILi1024ELi16ELi64EdEEvi21rocsparse_index_base_PKT2_PKiPiS2_.num_named_barrier, 0
	.set _ZN9rocsparseL19nnz_compress_kernelILi1024ELi16ELi64EdEEvi21rocsparse_index_base_PKT2_PKiPiS2_.private_seg_size, 0
	.set _ZN9rocsparseL19nnz_compress_kernelILi1024ELi16ELi64EdEEvi21rocsparse_index_base_PKT2_PKiPiS2_.uses_vcc, 1
	.set _ZN9rocsparseL19nnz_compress_kernelILi1024ELi16ELi64EdEEvi21rocsparse_index_base_PKT2_PKiPiS2_.uses_flat_scratch, 0
	.set _ZN9rocsparseL19nnz_compress_kernelILi1024ELi16ELi64EdEEvi21rocsparse_index_base_PKT2_PKiPiS2_.has_dyn_sized_stack, 0
	.set _ZN9rocsparseL19nnz_compress_kernelILi1024ELi16ELi64EdEEvi21rocsparse_index_base_PKT2_PKiPiS2_.has_recursion, 0
	.set _ZN9rocsparseL19nnz_compress_kernelILi1024ELi16ELi64EdEEvi21rocsparse_index_base_PKT2_PKiPiS2_.has_indirect_call, 0
	.section	.AMDGPU.csdata,"",@progbits
; Kernel info:
; codeLenInByte = 544
; TotalNumSgprs: 12
; NumVgprs: 10
; ScratchSize: 0
; MemoryBound: 0
; FloatMode: 240
; IeeeMode: 1
; LDSByteSize: 0 bytes/workgroup (compile time only)
; SGPRBlocks: 0
; VGPRBlocks: 1
; NumSGPRsForWavesPerEU: 12
; NumVGPRsForWavesPerEU: 10
; Occupancy: 16
; WaveLimiterHint : 0
; COMPUTE_PGM_RSRC2:SCRATCH_EN: 0
; COMPUTE_PGM_RSRC2:USER_SGPR: 6
; COMPUTE_PGM_RSRC2:TRAP_HANDLER: 0
; COMPUTE_PGM_RSRC2:TGID_X_EN: 1
; COMPUTE_PGM_RSRC2:TGID_Y_EN: 0
; COMPUTE_PGM_RSRC2:TGID_Z_EN: 0
; COMPUTE_PGM_RSRC2:TIDIG_COMP_CNT: 0
	.section	.text._ZN9rocsparseL19nnz_compress_kernelILi1024ELi512ELi2E21rocsparse_complex_numIfEEEvi21rocsparse_index_base_PKT2_PKiPiS4_,"axG",@progbits,_ZN9rocsparseL19nnz_compress_kernelILi1024ELi512ELi2E21rocsparse_complex_numIfEEEvi21rocsparse_index_base_PKT2_PKiPiS4_,comdat
	.globl	_ZN9rocsparseL19nnz_compress_kernelILi1024ELi512ELi2E21rocsparse_complex_numIfEEEvi21rocsparse_index_base_PKT2_PKiPiS4_ ; -- Begin function _ZN9rocsparseL19nnz_compress_kernelILi1024ELi512ELi2E21rocsparse_complex_numIfEEEvi21rocsparse_index_base_PKT2_PKiPiS4_
	.p2align	8
	.type	_ZN9rocsparseL19nnz_compress_kernelILi1024ELi512ELi2E21rocsparse_complex_numIfEEEvi21rocsparse_index_base_PKT2_PKiPiS4_,@function
_ZN9rocsparseL19nnz_compress_kernelILi1024ELi512ELi2E21rocsparse_complex_numIfEEEvi21rocsparse_index_base_PKT2_PKiPiS4_: ; @_ZN9rocsparseL19nnz_compress_kernelILi1024ELi512ELi2E21rocsparse_complex_numIfEEEvi21rocsparse_index_base_PKT2_PKiPiS4_
; %bb.0:
	s_load_dwordx2 s[8:9], s[4:5], 0x0
	v_lshrrev_b32_e32 v1, 1, v0
	s_mov_b32 s0, exec_lo
	v_lshl_or_b32 v1, s6, 9, v1
	s_waitcnt lgkmcnt(0)
	v_cmpx_gt_i32_e64 s8, v1
	s_cbranch_execz .LBB12_22
; %bb.1:
	s_load_dwordx4 s[0:3], s[4:5], 0x10
	v_ashrrev_i32_e32 v2, 31, v1
	v_and_b32_e32 v0, 1, v0
	v_mov_b32_e32 v8, 0
	s_mov_b32 s6, exec_lo
	v_lshlrev_b64 v[1:2], 2, v[1:2]
	v_subrev_nc_u32_e32 v5, s9, v0
	s_waitcnt lgkmcnt(0)
	v_add_co_u32 v3, vcc_lo, s0, v1
	v_add_co_ci_u32_e64 v4, null, s1, v2, vcc_lo
	global_load_dwordx2 v[3:4], v[3:4], off
	s_waitcnt vmcnt(0)
	v_subrev_nc_u32_e32 v0, s9, v4
	v_add_nc_u32_e32 v3, v3, v5
	v_cmpx_lt_i32_e64 v3, v0
	s_cbranch_execz .LBB12_21
; %bb.2:
	s_load_dwordx2 s[0:1], s[4:5], 0x8
	v_ashrrev_i32_e32 v4, 31, v3
	s_load_dword s4, s[4:5], 0x20
	v_mov_b32_e32 v8, 0
	s_mov_b32 s5, 0
	v_lshlrev_b64 v[4:5], 3, v[3:4]
	s_waitcnt lgkmcnt(0)
	v_add_co_u32 v4, vcc_lo, s0, v4
	v_add_co_ci_u32_e64 v5, null, s1, v5, vcc_lo
	v_add_co_u32 v4, vcc_lo, v4, 4
	v_add_co_ci_u32_e64 v5, null, 0, v5, vcc_lo
	s_branch .LBB12_5
.LBB12_3:                               ;   in Loop: Header=BB12_5 Depth=1
	s_or_b32 exec_lo, exec_lo, s0
.LBB12_4:                               ;   in Loop: Header=BB12_5 Depth=1
	s_or_b32 exec_lo, exec_lo, s1
	v_add_nc_u32_e32 v3, 2, v3
	v_add_co_u32 v4, s0, v4, 16
	v_add_co_ci_u32_e64 v5, null, 0, v5, s0
	v_cmp_ge_i32_e32 vcc_lo, v3, v0
	s_or_b32 s5, vcc_lo, s5
	s_andn2_b32 exec_lo, exec_lo, s5
	s_cbranch_execz .LBB12_20
.LBB12_5:                               ; =>This Inner Loop Header: Depth=1
	global_load_dwordx2 v[6:7], v[4:5], off offset:-4
                                        ; implicit-def: $vgpr10
	s_waitcnt vmcnt(0)
	v_cmp_gt_f32_e32 vcc_lo, 0, v6
	v_cndmask_b32_e64 v6, v6, -v6, vcc_lo
	v_cmp_gt_f32_e32 vcc_lo, 0, v7
	v_cndmask_b32_e64 v9, v7, -v7, vcc_lo
	v_cmp_ngt_f32_e64 s0, v6, v9
	s_and_saveexec_b32 s1, s0
	s_xor_b32 s7, exec_lo, s1
	s_cbranch_execz .LBB12_9
; %bb.6:                                ;   in Loop: Header=BB12_5 Depth=1
	v_mov_b32_e32 v10, 0
	s_mov_b32 s8, exec_lo
	v_cmpx_neq_f32_e32 0, v7
	s_cbranch_execz .LBB12_8
; %bb.7:                                ;   in Loop: Header=BB12_5 Depth=1
	v_div_scale_f32 v10, null, v9, v9, v6
	v_div_scale_f32 v13, vcc_lo, v6, v9, v6
	v_rcp_f32_e32 v11, v10
	v_fma_f32 v12, -v10, v11, 1.0
	v_fmac_f32_e32 v11, v12, v11
	v_mul_f32_e32 v12, v13, v11
	v_fma_f32 v14, -v10, v12, v13
	v_fmac_f32_e32 v12, v14, v11
	v_fma_f32 v10, -v10, v12, v13
	v_div_fmas_f32 v10, v10, v11, v12
	v_div_fixup_f32 v10, v10, v9, v6
	v_fma_f32 v10, v10, v10, 1.0
	v_mul_f32_e32 v11, 0x4f800000, v10
	v_cmp_gt_f32_e32 vcc_lo, 0xf800000, v10
	v_cndmask_b32_e32 v10, v10, v11, vcc_lo
	v_sqrt_f32_e32 v11, v10
	v_add_nc_u32_e32 v12, -1, v11
	v_add_nc_u32_e32 v13, 1, v11
	v_fma_f32 v14, -v12, v11, v10
	v_fma_f32 v15, -v13, v11, v10
	v_cmp_ge_f32_e64 s1, 0, v14
	v_cndmask_b32_e64 v11, v11, v12, s1
	v_cmp_lt_f32_e64 s1, 0, v15
	v_cndmask_b32_e64 v11, v11, v13, s1
	v_mul_f32_e32 v12, 0x37800000, v11
	v_cndmask_b32_e32 v11, v11, v12, vcc_lo
	v_cmp_class_f32_e64 vcc_lo, v10, 0x260
	v_cndmask_b32_e32 v10, v11, v10, vcc_lo
	v_mul_f32_e32 v10, v9, v10
.LBB12_8:                               ;   in Loop: Header=BB12_5 Depth=1
	s_or_b32 exec_lo, exec_lo, s8
.LBB12_9:                               ;   in Loop: Header=BB12_5 Depth=1
	s_andn2_saveexec_b32 s7, s7
	s_cbranch_execz .LBB12_11
; %bb.10:                               ;   in Loop: Header=BB12_5 Depth=1
	v_div_scale_f32 v10, null, v6, v6, v9
	v_div_scale_f32 v13, vcc_lo, v9, v6, v9
	v_rcp_f32_e32 v11, v10
	v_fma_f32 v12, -v10, v11, 1.0
	v_fmac_f32_e32 v11, v12, v11
	v_mul_f32_e32 v12, v13, v11
	v_fma_f32 v14, -v10, v12, v13
	v_fmac_f32_e32 v12, v14, v11
	v_fma_f32 v10, -v10, v12, v13
	v_div_fmas_f32 v10, v10, v11, v12
	v_div_fixup_f32 v10, v10, v6, v9
	v_fma_f32 v10, v10, v10, 1.0
	v_mul_f32_e32 v11, 0x4f800000, v10
	v_cmp_gt_f32_e32 vcc_lo, 0xf800000, v10
	v_cndmask_b32_e32 v10, v10, v11, vcc_lo
	v_sqrt_f32_e32 v11, v10
	v_add_nc_u32_e32 v12, -1, v11
	v_add_nc_u32_e32 v13, 1, v11
	v_fma_f32 v14, -v12, v11, v10
	v_fma_f32 v15, -v13, v11, v10
	v_cmp_ge_f32_e64 s1, 0, v14
	v_cndmask_b32_e64 v11, v11, v12, s1
	v_cmp_lt_f32_e64 s1, 0, v15
	v_cndmask_b32_e64 v11, v11, v13, s1
	v_mul_f32_e32 v12, 0x37800000, v11
	v_cndmask_b32_e32 v11, v11, v12, vcc_lo
	v_cmp_class_f32_e64 vcc_lo, v10, 0x260
	v_cndmask_b32_e32 v10, v11, v10, vcc_lo
	v_mul_f32_e32 v10, v6, v10
.LBB12_11:                              ;   in Loop: Header=BB12_5 Depth=1
	s_or_b32 exec_lo, exec_lo, s7
	s_mov_b32 s1, exec_lo
	v_cmpx_lt_f32_e32 s4, v10
	s_cbranch_execz .LBB12_4
; %bb.12:                               ;   in Loop: Header=BB12_5 Depth=1
                                        ; implicit-def: $vgpr10
	s_and_saveexec_b32 s7, s0
	s_xor_b32 s7, exec_lo, s7
	s_cbranch_execz .LBB12_16
; %bb.13:                               ;   in Loop: Header=BB12_5 Depth=1
	v_mov_b32_e32 v10, 0
	s_mov_b32 s8, exec_lo
	v_cmpx_neq_f32_e32 0, v7
	s_cbranch_execz .LBB12_15
; %bb.14:                               ;   in Loop: Header=BB12_5 Depth=1
	v_div_scale_f32 v7, null, v9, v9, v6
	v_div_scale_f32 v12, vcc_lo, v6, v9, v6
	v_rcp_f32_e32 v10, v7
	v_fma_f32 v11, -v7, v10, 1.0
	v_fmac_f32_e32 v10, v11, v10
	v_mul_f32_e32 v11, v12, v10
	v_fma_f32 v13, -v7, v11, v12
	v_fmac_f32_e32 v11, v13, v10
	v_fma_f32 v7, -v7, v11, v12
	v_div_fmas_f32 v7, v7, v10, v11
	v_div_fixup_f32 v6, v7, v9, v6
	v_fma_f32 v6, v6, v6, 1.0
	v_mul_f32_e32 v7, 0x4f800000, v6
	v_cmp_gt_f32_e32 vcc_lo, 0xf800000, v6
	v_cndmask_b32_e32 v6, v6, v7, vcc_lo
	v_sqrt_f32_e32 v7, v6
	v_add_nc_u32_e32 v10, -1, v7
	v_add_nc_u32_e32 v11, 1, v7
	v_fma_f32 v12, -v10, v7, v6
	v_fma_f32 v13, -v11, v7, v6
	v_cmp_ge_f32_e64 s0, 0, v12
	v_cndmask_b32_e64 v7, v7, v10, s0
	v_cmp_lt_f32_e64 s0, 0, v13
	v_cndmask_b32_e64 v7, v7, v11, s0
	v_mul_f32_e32 v10, 0x37800000, v7
	v_cndmask_b32_e32 v7, v7, v10, vcc_lo
	v_cmp_class_f32_e64 vcc_lo, v6, 0x260
	v_cndmask_b32_e32 v6, v7, v6, vcc_lo
	v_mul_f32_e32 v10, v9, v6
.LBB12_15:                              ;   in Loop: Header=BB12_5 Depth=1
	s_or_b32 exec_lo, exec_lo, s8
                                        ; implicit-def: $vgpr6
                                        ; implicit-def: $vgpr9
.LBB12_16:                              ;   in Loop: Header=BB12_5 Depth=1
	s_andn2_saveexec_b32 s7, s7
	s_cbranch_execz .LBB12_18
; %bb.17:                               ;   in Loop: Header=BB12_5 Depth=1
	v_div_scale_f32 v7, null, v6, v6, v9
	v_div_scale_f32 v12, vcc_lo, v9, v6, v9
	v_rcp_f32_e32 v10, v7
	v_fma_f32 v11, -v7, v10, 1.0
	v_fmac_f32_e32 v10, v11, v10
	v_mul_f32_e32 v11, v12, v10
	v_fma_f32 v13, -v7, v11, v12
	v_fmac_f32_e32 v11, v13, v10
	v_fma_f32 v7, -v7, v11, v12
	v_div_fmas_f32 v7, v7, v10, v11
	v_div_fixup_f32 v7, v7, v6, v9
	v_fma_f32 v7, v7, v7, 1.0
	v_mul_f32_e32 v9, 0x4f800000, v7
	v_cmp_gt_f32_e32 vcc_lo, 0xf800000, v7
	v_cndmask_b32_e32 v7, v7, v9, vcc_lo
	v_sqrt_f32_e32 v9, v7
	v_add_nc_u32_e32 v10, -1, v9
	v_add_nc_u32_e32 v11, 1, v9
	v_fma_f32 v12, -v10, v9, v7
	v_fma_f32 v13, -v11, v9, v7
	v_cmp_ge_f32_e64 s0, 0, v12
	v_cndmask_b32_e64 v9, v9, v10, s0
	v_cmp_lt_f32_e64 s0, 0, v13
	v_cndmask_b32_e64 v9, v9, v11, s0
	v_mul_f32_e32 v10, 0x37800000, v9
	v_cndmask_b32_e32 v9, v9, v10, vcc_lo
	v_cmp_class_f32_e64 vcc_lo, v7, 0x260
	v_cndmask_b32_e32 v7, v9, v7, vcc_lo
	v_mul_f32_e32 v10, v6, v7
.LBB12_18:                              ;   in Loop: Header=BB12_5 Depth=1
	s_or_b32 exec_lo, exec_lo, s7
	s_mov_b32 s0, exec_lo
	v_cmpx_lt_f32_e32 0x800000, v10
	s_cbranch_execz .LBB12_3
; %bb.19:                               ;   in Loop: Header=BB12_5 Depth=1
	v_add_nc_u32_e32 v8, 1, v8
	s_branch .LBB12_3
.LBB12_20:
	s_or_b32 exec_lo, exec_lo, s5
.LBB12_21:
	s_or_b32 exec_lo, exec_lo, s6
	v_mbcnt_lo_u32_b32 v0, -1, 0
	v_xor_b32_e32 v3, 1, v0
	v_cmp_gt_i32_e32 vcc_lo, 32, v3
	v_cndmask_b32_e32 v3, v0, v3, vcc_lo
	v_lshl_or_b32 v0, v0, 2, 4
	v_lshlrev_b32_e32 v3, 2, v3
	ds_bpermute_b32 v3, v3, v8
	s_waitcnt lgkmcnt(0)
	v_add_nc_u32_e32 v3, v3, v8
	ds_bpermute_b32 v3, v0, v3
	v_add_co_u32 v0, vcc_lo, s2, v1
	v_add_co_ci_u32_e64 v1, null, s3, v2, vcc_lo
	s_waitcnt lgkmcnt(0)
	global_store_dword v[0:1], v3, off
.LBB12_22:
	s_endpgm
	.section	.rodata,"a",@progbits
	.p2align	6, 0x0
	.amdhsa_kernel _ZN9rocsparseL19nnz_compress_kernelILi1024ELi512ELi2E21rocsparse_complex_numIfEEEvi21rocsparse_index_base_PKT2_PKiPiS4_
		.amdhsa_group_segment_fixed_size 0
		.amdhsa_private_segment_fixed_size 0
		.amdhsa_kernarg_size 40
		.amdhsa_user_sgpr_count 6
		.amdhsa_user_sgpr_private_segment_buffer 1
		.amdhsa_user_sgpr_dispatch_ptr 0
		.amdhsa_user_sgpr_queue_ptr 0
		.amdhsa_user_sgpr_kernarg_segment_ptr 1
		.amdhsa_user_sgpr_dispatch_id 0
		.amdhsa_user_sgpr_flat_scratch_init 0
		.amdhsa_user_sgpr_private_segment_size 0
		.amdhsa_wavefront_size32 1
		.amdhsa_uses_dynamic_stack 0
		.amdhsa_system_sgpr_private_segment_wavefront_offset 0
		.amdhsa_system_sgpr_workgroup_id_x 1
		.amdhsa_system_sgpr_workgroup_id_y 0
		.amdhsa_system_sgpr_workgroup_id_z 0
		.amdhsa_system_sgpr_workgroup_info 0
		.amdhsa_system_vgpr_workitem_id 0
		.amdhsa_next_free_vgpr 16
		.amdhsa_next_free_sgpr 10
		.amdhsa_reserve_vcc 1
		.amdhsa_reserve_flat_scratch 0
		.amdhsa_float_round_mode_32 0
		.amdhsa_float_round_mode_16_64 0
		.amdhsa_float_denorm_mode_32 3
		.amdhsa_float_denorm_mode_16_64 3
		.amdhsa_dx10_clamp 1
		.amdhsa_ieee_mode 1
		.amdhsa_fp16_overflow 0
		.amdhsa_workgroup_processor_mode 1
		.amdhsa_memory_ordered 1
		.amdhsa_forward_progress 1
		.amdhsa_shared_vgpr_count 0
		.amdhsa_exception_fp_ieee_invalid_op 0
		.amdhsa_exception_fp_denorm_src 0
		.amdhsa_exception_fp_ieee_div_zero 0
		.amdhsa_exception_fp_ieee_overflow 0
		.amdhsa_exception_fp_ieee_underflow 0
		.amdhsa_exception_fp_ieee_inexact 0
		.amdhsa_exception_int_div_zero 0
	.end_amdhsa_kernel
	.section	.text._ZN9rocsparseL19nnz_compress_kernelILi1024ELi512ELi2E21rocsparse_complex_numIfEEEvi21rocsparse_index_base_PKT2_PKiPiS4_,"axG",@progbits,_ZN9rocsparseL19nnz_compress_kernelILi1024ELi512ELi2E21rocsparse_complex_numIfEEEvi21rocsparse_index_base_PKT2_PKiPiS4_,comdat
.Lfunc_end12:
	.size	_ZN9rocsparseL19nnz_compress_kernelILi1024ELi512ELi2E21rocsparse_complex_numIfEEEvi21rocsparse_index_base_PKT2_PKiPiS4_, .Lfunc_end12-_ZN9rocsparseL19nnz_compress_kernelILi1024ELi512ELi2E21rocsparse_complex_numIfEEEvi21rocsparse_index_base_PKT2_PKiPiS4_
                                        ; -- End function
	.set _ZN9rocsparseL19nnz_compress_kernelILi1024ELi512ELi2E21rocsparse_complex_numIfEEEvi21rocsparse_index_base_PKT2_PKiPiS4_.num_vgpr, 16
	.set _ZN9rocsparseL19nnz_compress_kernelILi1024ELi512ELi2E21rocsparse_complex_numIfEEEvi21rocsparse_index_base_PKT2_PKiPiS4_.num_agpr, 0
	.set _ZN9rocsparseL19nnz_compress_kernelILi1024ELi512ELi2E21rocsparse_complex_numIfEEEvi21rocsparse_index_base_PKT2_PKiPiS4_.numbered_sgpr, 10
	.set _ZN9rocsparseL19nnz_compress_kernelILi1024ELi512ELi2E21rocsparse_complex_numIfEEEvi21rocsparse_index_base_PKT2_PKiPiS4_.num_named_barrier, 0
	.set _ZN9rocsparseL19nnz_compress_kernelILi1024ELi512ELi2E21rocsparse_complex_numIfEEEvi21rocsparse_index_base_PKT2_PKiPiS4_.private_seg_size, 0
	.set _ZN9rocsparseL19nnz_compress_kernelILi1024ELi512ELi2E21rocsparse_complex_numIfEEEvi21rocsparse_index_base_PKT2_PKiPiS4_.uses_vcc, 1
	.set _ZN9rocsparseL19nnz_compress_kernelILi1024ELi512ELi2E21rocsparse_complex_numIfEEEvi21rocsparse_index_base_PKT2_PKiPiS4_.uses_flat_scratch, 0
	.set _ZN9rocsparseL19nnz_compress_kernelILi1024ELi512ELi2E21rocsparse_complex_numIfEEEvi21rocsparse_index_base_PKT2_PKiPiS4_.has_dyn_sized_stack, 0
	.set _ZN9rocsparseL19nnz_compress_kernelILi1024ELi512ELi2E21rocsparse_complex_numIfEEEvi21rocsparse_index_base_PKT2_PKiPiS4_.has_recursion, 0
	.set _ZN9rocsparseL19nnz_compress_kernelILi1024ELi512ELi2E21rocsparse_complex_numIfEEEvi21rocsparse_index_base_PKT2_PKiPiS4_.has_indirect_call, 0
	.section	.AMDGPU.csdata,"",@progbits
; Kernel info:
; codeLenInByte = 1280
; TotalNumSgprs: 12
; NumVgprs: 16
; ScratchSize: 0
; MemoryBound: 0
; FloatMode: 240
; IeeeMode: 1
; LDSByteSize: 0 bytes/workgroup (compile time only)
; SGPRBlocks: 0
; VGPRBlocks: 1
; NumSGPRsForWavesPerEU: 12
; NumVGPRsForWavesPerEU: 16
; Occupancy: 16
; WaveLimiterHint : 0
; COMPUTE_PGM_RSRC2:SCRATCH_EN: 0
; COMPUTE_PGM_RSRC2:USER_SGPR: 6
; COMPUTE_PGM_RSRC2:TRAP_HANDLER: 0
; COMPUTE_PGM_RSRC2:TGID_X_EN: 1
; COMPUTE_PGM_RSRC2:TGID_Y_EN: 0
; COMPUTE_PGM_RSRC2:TGID_Z_EN: 0
; COMPUTE_PGM_RSRC2:TIDIG_COMP_CNT: 0
	.section	.text._ZN9rocsparseL19nnz_compress_kernelILi1024ELi256ELi4E21rocsparse_complex_numIfEEEvi21rocsparse_index_base_PKT2_PKiPiS4_,"axG",@progbits,_ZN9rocsparseL19nnz_compress_kernelILi1024ELi256ELi4E21rocsparse_complex_numIfEEEvi21rocsparse_index_base_PKT2_PKiPiS4_,comdat
	.globl	_ZN9rocsparseL19nnz_compress_kernelILi1024ELi256ELi4E21rocsparse_complex_numIfEEEvi21rocsparse_index_base_PKT2_PKiPiS4_ ; -- Begin function _ZN9rocsparseL19nnz_compress_kernelILi1024ELi256ELi4E21rocsparse_complex_numIfEEEvi21rocsparse_index_base_PKT2_PKiPiS4_
	.p2align	8
	.type	_ZN9rocsparseL19nnz_compress_kernelILi1024ELi256ELi4E21rocsparse_complex_numIfEEEvi21rocsparse_index_base_PKT2_PKiPiS4_,@function
_ZN9rocsparseL19nnz_compress_kernelILi1024ELi256ELi4E21rocsparse_complex_numIfEEEvi21rocsparse_index_base_PKT2_PKiPiS4_: ; @_ZN9rocsparseL19nnz_compress_kernelILi1024ELi256ELi4E21rocsparse_complex_numIfEEEvi21rocsparse_index_base_PKT2_PKiPiS4_
; %bb.0:
	s_load_dwordx2 s[8:9], s[4:5], 0x0
	v_lshrrev_b32_e32 v1, 2, v0
	s_mov_b32 s0, exec_lo
	v_lshl_or_b32 v1, s6, 8, v1
	s_waitcnt lgkmcnt(0)
	v_cmpx_gt_i32_e64 s8, v1
	s_cbranch_execz .LBB13_22
; %bb.1:
	s_load_dwordx4 s[0:3], s[4:5], 0x10
	v_ashrrev_i32_e32 v2, 31, v1
	v_and_b32_e32 v0, 3, v0
	s_mov_b32 s6, exec_lo
	v_lshlrev_b64 v[1:2], 2, v[1:2]
	v_subrev_nc_u32_e32 v0, s9, v0
	s_waitcnt lgkmcnt(0)
	v_add_co_u32 v3, vcc_lo, s0, v1
	v_add_co_ci_u32_e64 v4, null, s1, v2, vcc_lo
	global_load_dwordx2 v[3:4], v[3:4], off
	s_waitcnt vmcnt(0)
	v_subrev_nc_u32_e32 v8, s9, v4
	v_add_nc_u32_e32 v3, v3, v0
	v_mov_b32_e32 v0, 0
	v_cmpx_lt_i32_e64 v3, v8
	s_cbranch_execz .LBB13_21
; %bb.2:
	s_load_dwordx2 s[0:1], s[4:5], 0x8
	v_ashrrev_i32_e32 v4, 31, v3
	s_load_dword s4, s[4:5], 0x20
	s_mov_b32 s5, 0
	v_lshlrev_b64 v[4:5], 3, v[3:4]
	s_waitcnt lgkmcnt(0)
	v_add_co_u32 v0, vcc_lo, s0, v4
	v_add_co_ci_u32_e64 v5, null, s1, v5, vcc_lo
	v_add_co_u32 v4, vcc_lo, v0, 4
	v_add_co_ci_u32_e64 v5, null, 0, v5, vcc_lo
	v_mov_b32_e32 v0, 0
	s_branch .LBB13_5
.LBB13_3:                               ;   in Loop: Header=BB13_5 Depth=1
	s_or_b32 exec_lo, exec_lo, s0
.LBB13_4:                               ;   in Loop: Header=BB13_5 Depth=1
	s_or_b32 exec_lo, exec_lo, s1
	v_add_nc_u32_e32 v3, 4, v3
	v_add_co_u32 v4, s0, v4, 32
	v_add_co_ci_u32_e64 v5, null, 0, v5, s0
	v_cmp_ge_i32_e32 vcc_lo, v3, v8
	s_or_b32 s5, vcc_lo, s5
	s_andn2_b32 exec_lo, exec_lo, s5
	s_cbranch_execz .LBB13_20
.LBB13_5:                               ; =>This Inner Loop Header: Depth=1
	global_load_dwordx2 v[6:7], v[4:5], off offset:-4
                                        ; implicit-def: $vgpr10
	s_waitcnt vmcnt(0)
	v_cmp_gt_f32_e32 vcc_lo, 0, v6
	v_cndmask_b32_e64 v6, v6, -v6, vcc_lo
	v_cmp_gt_f32_e32 vcc_lo, 0, v7
	v_cndmask_b32_e64 v9, v7, -v7, vcc_lo
	v_cmp_ngt_f32_e64 s0, v6, v9
	s_and_saveexec_b32 s1, s0
	s_xor_b32 s7, exec_lo, s1
	s_cbranch_execz .LBB13_9
; %bb.6:                                ;   in Loop: Header=BB13_5 Depth=1
	v_mov_b32_e32 v10, 0
	s_mov_b32 s8, exec_lo
	v_cmpx_neq_f32_e32 0, v7
	s_cbranch_execz .LBB13_8
; %bb.7:                                ;   in Loop: Header=BB13_5 Depth=1
	v_div_scale_f32 v10, null, v9, v9, v6
	v_div_scale_f32 v13, vcc_lo, v6, v9, v6
	v_rcp_f32_e32 v11, v10
	v_fma_f32 v12, -v10, v11, 1.0
	v_fmac_f32_e32 v11, v12, v11
	v_mul_f32_e32 v12, v13, v11
	v_fma_f32 v14, -v10, v12, v13
	v_fmac_f32_e32 v12, v14, v11
	v_fma_f32 v10, -v10, v12, v13
	v_div_fmas_f32 v10, v10, v11, v12
	v_div_fixup_f32 v10, v10, v9, v6
	v_fma_f32 v10, v10, v10, 1.0
	v_mul_f32_e32 v11, 0x4f800000, v10
	v_cmp_gt_f32_e32 vcc_lo, 0xf800000, v10
	v_cndmask_b32_e32 v10, v10, v11, vcc_lo
	v_sqrt_f32_e32 v11, v10
	v_add_nc_u32_e32 v12, -1, v11
	v_add_nc_u32_e32 v13, 1, v11
	v_fma_f32 v14, -v12, v11, v10
	v_fma_f32 v15, -v13, v11, v10
	v_cmp_ge_f32_e64 s1, 0, v14
	v_cndmask_b32_e64 v11, v11, v12, s1
	v_cmp_lt_f32_e64 s1, 0, v15
	v_cndmask_b32_e64 v11, v11, v13, s1
	v_mul_f32_e32 v12, 0x37800000, v11
	v_cndmask_b32_e32 v11, v11, v12, vcc_lo
	v_cmp_class_f32_e64 vcc_lo, v10, 0x260
	v_cndmask_b32_e32 v10, v11, v10, vcc_lo
	v_mul_f32_e32 v10, v9, v10
.LBB13_8:                               ;   in Loop: Header=BB13_5 Depth=1
	s_or_b32 exec_lo, exec_lo, s8
.LBB13_9:                               ;   in Loop: Header=BB13_5 Depth=1
	s_andn2_saveexec_b32 s7, s7
	s_cbranch_execz .LBB13_11
; %bb.10:                               ;   in Loop: Header=BB13_5 Depth=1
	v_div_scale_f32 v10, null, v6, v6, v9
	v_div_scale_f32 v13, vcc_lo, v9, v6, v9
	v_rcp_f32_e32 v11, v10
	v_fma_f32 v12, -v10, v11, 1.0
	v_fmac_f32_e32 v11, v12, v11
	v_mul_f32_e32 v12, v13, v11
	v_fma_f32 v14, -v10, v12, v13
	v_fmac_f32_e32 v12, v14, v11
	v_fma_f32 v10, -v10, v12, v13
	v_div_fmas_f32 v10, v10, v11, v12
	v_div_fixup_f32 v10, v10, v6, v9
	v_fma_f32 v10, v10, v10, 1.0
	v_mul_f32_e32 v11, 0x4f800000, v10
	v_cmp_gt_f32_e32 vcc_lo, 0xf800000, v10
	v_cndmask_b32_e32 v10, v10, v11, vcc_lo
	v_sqrt_f32_e32 v11, v10
	v_add_nc_u32_e32 v12, -1, v11
	v_add_nc_u32_e32 v13, 1, v11
	v_fma_f32 v14, -v12, v11, v10
	v_fma_f32 v15, -v13, v11, v10
	v_cmp_ge_f32_e64 s1, 0, v14
	v_cndmask_b32_e64 v11, v11, v12, s1
	v_cmp_lt_f32_e64 s1, 0, v15
	v_cndmask_b32_e64 v11, v11, v13, s1
	v_mul_f32_e32 v12, 0x37800000, v11
	v_cndmask_b32_e32 v11, v11, v12, vcc_lo
	v_cmp_class_f32_e64 vcc_lo, v10, 0x260
	v_cndmask_b32_e32 v10, v11, v10, vcc_lo
	v_mul_f32_e32 v10, v6, v10
.LBB13_11:                              ;   in Loop: Header=BB13_5 Depth=1
	s_or_b32 exec_lo, exec_lo, s7
	s_mov_b32 s1, exec_lo
	v_cmpx_lt_f32_e32 s4, v10
	s_cbranch_execz .LBB13_4
; %bb.12:                               ;   in Loop: Header=BB13_5 Depth=1
                                        ; implicit-def: $vgpr10
	s_and_saveexec_b32 s7, s0
	s_xor_b32 s7, exec_lo, s7
	s_cbranch_execz .LBB13_16
; %bb.13:                               ;   in Loop: Header=BB13_5 Depth=1
	v_mov_b32_e32 v10, 0
	s_mov_b32 s8, exec_lo
	v_cmpx_neq_f32_e32 0, v7
	s_cbranch_execz .LBB13_15
; %bb.14:                               ;   in Loop: Header=BB13_5 Depth=1
	v_div_scale_f32 v7, null, v9, v9, v6
	v_div_scale_f32 v12, vcc_lo, v6, v9, v6
	v_rcp_f32_e32 v10, v7
	v_fma_f32 v11, -v7, v10, 1.0
	v_fmac_f32_e32 v10, v11, v10
	v_mul_f32_e32 v11, v12, v10
	v_fma_f32 v13, -v7, v11, v12
	v_fmac_f32_e32 v11, v13, v10
	v_fma_f32 v7, -v7, v11, v12
	v_div_fmas_f32 v7, v7, v10, v11
	v_div_fixup_f32 v6, v7, v9, v6
	v_fma_f32 v6, v6, v6, 1.0
	v_mul_f32_e32 v7, 0x4f800000, v6
	v_cmp_gt_f32_e32 vcc_lo, 0xf800000, v6
	v_cndmask_b32_e32 v6, v6, v7, vcc_lo
	v_sqrt_f32_e32 v7, v6
	v_add_nc_u32_e32 v10, -1, v7
	v_add_nc_u32_e32 v11, 1, v7
	v_fma_f32 v12, -v10, v7, v6
	v_fma_f32 v13, -v11, v7, v6
	v_cmp_ge_f32_e64 s0, 0, v12
	v_cndmask_b32_e64 v7, v7, v10, s0
	v_cmp_lt_f32_e64 s0, 0, v13
	v_cndmask_b32_e64 v7, v7, v11, s0
	v_mul_f32_e32 v10, 0x37800000, v7
	v_cndmask_b32_e32 v7, v7, v10, vcc_lo
	v_cmp_class_f32_e64 vcc_lo, v6, 0x260
	v_cndmask_b32_e32 v6, v7, v6, vcc_lo
	v_mul_f32_e32 v10, v9, v6
.LBB13_15:                              ;   in Loop: Header=BB13_5 Depth=1
	s_or_b32 exec_lo, exec_lo, s8
                                        ; implicit-def: $vgpr6
                                        ; implicit-def: $vgpr9
.LBB13_16:                              ;   in Loop: Header=BB13_5 Depth=1
	s_andn2_saveexec_b32 s7, s7
	s_cbranch_execz .LBB13_18
; %bb.17:                               ;   in Loop: Header=BB13_5 Depth=1
	v_div_scale_f32 v7, null, v6, v6, v9
	v_div_scale_f32 v12, vcc_lo, v9, v6, v9
	v_rcp_f32_e32 v10, v7
	v_fma_f32 v11, -v7, v10, 1.0
	v_fmac_f32_e32 v10, v11, v10
	v_mul_f32_e32 v11, v12, v10
	v_fma_f32 v13, -v7, v11, v12
	v_fmac_f32_e32 v11, v13, v10
	v_fma_f32 v7, -v7, v11, v12
	v_div_fmas_f32 v7, v7, v10, v11
	v_div_fixup_f32 v7, v7, v6, v9
	v_fma_f32 v7, v7, v7, 1.0
	v_mul_f32_e32 v9, 0x4f800000, v7
	v_cmp_gt_f32_e32 vcc_lo, 0xf800000, v7
	v_cndmask_b32_e32 v7, v7, v9, vcc_lo
	v_sqrt_f32_e32 v9, v7
	v_add_nc_u32_e32 v10, -1, v9
	v_add_nc_u32_e32 v11, 1, v9
	v_fma_f32 v12, -v10, v9, v7
	v_fma_f32 v13, -v11, v9, v7
	v_cmp_ge_f32_e64 s0, 0, v12
	v_cndmask_b32_e64 v9, v9, v10, s0
	v_cmp_lt_f32_e64 s0, 0, v13
	v_cndmask_b32_e64 v9, v9, v11, s0
	v_mul_f32_e32 v10, 0x37800000, v9
	v_cndmask_b32_e32 v9, v9, v10, vcc_lo
	v_cmp_class_f32_e64 vcc_lo, v7, 0x260
	v_cndmask_b32_e32 v7, v9, v7, vcc_lo
	v_mul_f32_e32 v10, v6, v7
.LBB13_18:                              ;   in Loop: Header=BB13_5 Depth=1
	s_or_b32 exec_lo, exec_lo, s7
	s_mov_b32 s0, exec_lo
	v_cmpx_lt_f32_e32 0x800000, v10
	s_cbranch_execz .LBB13_3
; %bb.19:                               ;   in Loop: Header=BB13_5 Depth=1
	v_add_nc_u32_e32 v0, 1, v0
	s_branch .LBB13_3
.LBB13_20:
	s_or_b32 exec_lo, exec_lo, s5
.LBB13_21:
	s_or_b32 exec_lo, exec_lo, s6
	v_mbcnt_lo_u32_b32 v3, -1, 0
	v_xor_b32_e32 v4, 2, v3
	v_xor_b32_e32 v5, 1, v3
	v_cmp_gt_i32_e32 vcc_lo, 32, v4
	v_cndmask_b32_e32 v4, v3, v4, vcc_lo
	v_cmp_gt_i32_e32 vcc_lo, 32, v5
	v_lshlrev_b32_e32 v4, 2, v4
	v_cndmask_b32_e32 v5, v3, v5, vcc_lo
	v_lshl_or_b32 v3, v3, 2, 12
	ds_bpermute_b32 v4, v4, v0
	v_lshlrev_b32_e32 v5, 2, v5
	s_waitcnt lgkmcnt(0)
	v_add_nc_u32_e32 v0, v4, v0
	ds_bpermute_b32 v4, v5, v0
	s_waitcnt lgkmcnt(0)
	v_add_nc_u32_e32 v0, v4, v0
	ds_bpermute_b32 v3, v3, v0
	v_add_co_u32 v0, vcc_lo, s2, v1
	v_add_co_ci_u32_e64 v1, null, s3, v2, vcc_lo
	s_waitcnt lgkmcnt(0)
	global_store_dword v[0:1], v3, off
.LBB13_22:
	s_endpgm
	.section	.rodata,"a",@progbits
	.p2align	6, 0x0
	.amdhsa_kernel _ZN9rocsparseL19nnz_compress_kernelILi1024ELi256ELi4E21rocsparse_complex_numIfEEEvi21rocsparse_index_base_PKT2_PKiPiS4_
		.amdhsa_group_segment_fixed_size 0
		.amdhsa_private_segment_fixed_size 0
		.amdhsa_kernarg_size 40
		.amdhsa_user_sgpr_count 6
		.amdhsa_user_sgpr_private_segment_buffer 1
		.amdhsa_user_sgpr_dispatch_ptr 0
		.amdhsa_user_sgpr_queue_ptr 0
		.amdhsa_user_sgpr_kernarg_segment_ptr 1
		.amdhsa_user_sgpr_dispatch_id 0
		.amdhsa_user_sgpr_flat_scratch_init 0
		.amdhsa_user_sgpr_private_segment_size 0
		.amdhsa_wavefront_size32 1
		.amdhsa_uses_dynamic_stack 0
		.amdhsa_system_sgpr_private_segment_wavefront_offset 0
		.amdhsa_system_sgpr_workgroup_id_x 1
		.amdhsa_system_sgpr_workgroup_id_y 0
		.amdhsa_system_sgpr_workgroup_id_z 0
		.amdhsa_system_sgpr_workgroup_info 0
		.amdhsa_system_vgpr_workitem_id 0
		.amdhsa_next_free_vgpr 16
		.amdhsa_next_free_sgpr 10
		.amdhsa_reserve_vcc 1
		.amdhsa_reserve_flat_scratch 0
		.amdhsa_float_round_mode_32 0
		.amdhsa_float_round_mode_16_64 0
		.amdhsa_float_denorm_mode_32 3
		.amdhsa_float_denorm_mode_16_64 3
		.amdhsa_dx10_clamp 1
		.amdhsa_ieee_mode 1
		.amdhsa_fp16_overflow 0
		.amdhsa_workgroup_processor_mode 1
		.amdhsa_memory_ordered 1
		.amdhsa_forward_progress 1
		.amdhsa_shared_vgpr_count 0
		.amdhsa_exception_fp_ieee_invalid_op 0
		.amdhsa_exception_fp_denorm_src 0
		.amdhsa_exception_fp_ieee_div_zero 0
		.amdhsa_exception_fp_ieee_overflow 0
		.amdhsa_exception_fp_ieee_underflow 0
		.amdhsa_exception_fp_ieee_inexact 0
		.amdhsa_exception_int_div_zero 0
	.end_amdhsa_kernel
	.section	.text._ZN9rocsparseL19nnz_compress_kernelILi1024ELi256ELi4E21rocsparse_complex_numIfEEEvi21rocsparse_index_base_PKT2_PKiPiS4_,"axG",@progbits,_ZN9rocsparseL19nnz_compress_kernelILi1024ELi256ELi4E21rocsparse_complex_numIfEEEvi21rocsparse_index_base_PKT2_PKiPiS4_,comdat
.Lfunc_end13:
	.size	_ZN9rocsparseL19nnz_compress_kernelILi1024ELi256ELi4E21rocsparse_complex_numIfEEEvi21rocsparse_index_base_PKT2_PKiPiS4_, .Lfunc_end13-_ZN9rocsparseL19nnz_compress_kernelILi1024ELi256ELi4E21rocsparse_complex_numIfEEEvi21rocsparse_index_base_PKT2_PKiPiS4_
                                        ; -- End function
	.set _ZN9rocsparseL19nnz_compress_kernelILi1024ELi256ELi4E21rocsparse_complex_numIfEEEvi21rocsparse_index_base_PKT2_PKiPiS4_.num_vgpr, 16
	.set _ZN9rocsparseL19nnz_compress_kernelILi1024ELi256ELi4E21rocsparse_complex_numIfEEEvi21rocsparse_index_base_PKT2_PKiPiS4_.num_agpr, 0
	.set _ZN9rocsparseL19nnz_compress_kernelILi1024ELi256ELi4E21rocsparse_complex_numIfEEEvi21rocsparse_index_base_PKT2_PKiPiS4_.numbered_sgpr, 10
	.set _ZN9rocsparseL19nnz_compress_kernelILi1024ELi256ELi4E21rocsparse_complex_numIfEEEvi21rocsparse_index_base_PKT2_PKiPiS4_.num_named_barrier, 0
	.set _ZN9rocsparseL19nnz_compress_kernelILi1024ELi256ELi4E21rocsparse_complex_numIfEEEvi21rocsparse_index_base_PKT2_PKiPiS4_.private_seg_size, 0
	.set _ZN9rocsparseL19nnz_compress_kernelILi1024ELi256ELi4E21rocsparse_complex_numIfEEEvi21rocsparse_index_base_PKT2_PKiPiS4_.uses_vcc, 1
	.set _ZN9rocsparseL19nnz_compress_kernelILi1024ELi256ELi4E21rocsparse_complex_numIfEEEvi21rocsparse_index_base_PKT2_PKiPiS4_.uses_flat_scratch, 0
	.set _ZN9rocsparseL19nnz_compress_kernelILi1024ELi256ELi4E21rocsparse_complex_numIfEEEvi21rocsparse_index_base_PKT2_PKiPiS4_.has_dyn_sized_stack, 0
	.set _ZN9rocsparseL19nnz_compress_kernelILi1024ELi256ELi4E21rocsparse_complex_numIfEEEvi21rocsparse_index_base_PKT2_PKiPiS4_.has_recursion, 0
	.set _ZN9rocsparseL19nnz_compress_kernelILi1024ELi256ELi4E21rocsparse_complex_numIfEEEvi21rocsparse_index_base_PKT2_PKiPiS4_.has_indirect_call, 0
	.section	.AMDGPU.csdata,"",@progbits
; Kernel info:
; codeLenInByte = 1312
; TotalNumSgprs: 12
; NumVgprs: 16
; ScratchSize: 0
; MemoryBound: 0
; FloatMode: 240
; IeeeMode: 1
; LDSByteSize: 0 bytes/workgroup (compile time only)
; SGPRBlocks: 0
; VGPRBlocks: 1
; NumSGPRsForWavesPerEU: 12
; NumVGPRsForWavesPerEU: 16
; Occupancy: 16
; WaveLimiterHint : 0
; COMPUTE_PGM_RSRC2:SCRATCH_EN: 0
; COMPUTE_PGM_RSRC2:USER_SGPR: 6
; COMPUTE_PGM_RSRC2:TRAP_HANDLER: 0
; COMPUTE_PGM_RSRC2:TGID_X_EN: 1
; COMPUTE_PGM_RSRC2:TGID_Y_EN: 0
; COMPUTE_PGM_RSRC2:TGID_Z_EN: 0
; COMPUTE_PGM_RSRC2:TIDIG_COMP_CNT: 0
	.section	.text._ZN9rocsparseL19nnz_compress_kernelILi1024ELi128ELi8E21rocsparse_complex_numIfEEEvi21rocsparse_index_base_PKT2_PKiPiS4_,"axG",@progbits,_ZN9rocsparseL19nnz_compress_kernelILi1024ELi128ELi8E21rocsparse_complex_numIfEEEvi21rocsparse_index_base_PKT2_PKiPiS4_,comdat
	.globl	_ZN9rocsparseL19nnz_compress_kernelILi1024ELi128ELi8E21rocsparse_complex_numIfEEEvi21rocsparse_index_base_PKT2_PKiPiS4_ ; -- Begin function _ZN9rocsparseL19nnz_compress_kernelILi1024ELi128ELi8E21rocsparse_complex_numIfEEEvi21rocsparse_index_base_PKT2_PKiPiS4_
	.p2align	8
	.type	_ZN9rocsparseL19nnz_compress_kernelILi1024ELi128ELi8E21rocsparse_complex_numIfEEEvi21rocsparse_index_base_PKT2_PKiPiS4_,@function
_ZN9rocsparseL19nnz_compress_kernelILi1024ELi128ELi8E21rocsparse_complex_numIfEEEvi21rocsparse_index_base_PKT2_PKiPiS4_: ; @_ZN9rocsparseL19nnz_compress_kernelILi1024ELi128ELi8E21rocsparse_complex_numIfEEEvi21rocsparse_index_base_PKT2_PKiPiS4_
; %bb.0:
	s_load_dwordx2 s[8:9], s[4:5], 0x0
	v_lshrrev_b32_e32 v1, 3, v0
	s_mov_b32 s0, exec_lo
	v_lshl_or_b32 v1, s6, 7, v1
	s_waitcnt lgkmcnt(0)
	v_cmpx_gt_i32_e64 s8, v1
	s_cbranch_execz .LBB14_22
; %bb.1:
	s_load_dwordx4 s[0:3], s[4:5], 0x10
	v_ashrrev_i32_e32 v2, 31, v1
	v_and_b32_e32 v0, 7, v0
	s_mov_b32 s6, exec_lo
	v_lshlrev_b64 v[1:2], 2, v[1:2]
	v_subrev_nc_u32_e32 v0, s9, v0
	s_waitcnt lgkmcnt(0)
	v_add_co_u32 v3, vcc_lo, s0, v1
	v_add_co_ci_u32_e64 v4, null, s1, v2, vcc_lo
	global_load_dwordx2 v[3:4], v[3:4], off
	s_waitcnt vmcnt(0)
	v_subrev_nc_u32_e32 v8, s9, v4
	v_add_nc_u32_e32 v3, v3, v0
	v_mov_b32_e32 v0, 0
	v_cmpx_lt_i32_e64 v3, v8
	s_cbranch_execz .LBB14_21
; %bb.2:
	s_load_dwordx2 s[0:1], s[4:5], 0x8
	v_ashrrev_i32_e32 v4, 31, v3
	s_load_dword s4, s[4:5], 0x20
	s_mov_b32 s5, 0
	v_lshlrev_b64 v[4:5], 3, v[3:4]
	s_waitcnt lgkmcnt(0)
	v_add_co_u32 v0, vcc_lo, s0, v4
	v_add_co_ci_u32_e64 v5, null, s1, v5, vcc_lo
	v_add_co_u32 v4, vcc_lo, v0, 4
	v_add_co_ci_u32_e64 v5, null, 0, v5, vcc_lo
	v_mov_b32_e32 v0, 0
	s_branch .LBB14_5
.LBB14_3:                               ;   in Loop: Header=BB14_5 Depth=1
	s_or_b32 exec_lo, exec_lo, s0
.LBB14_4:                               ;   in Loop: Header=BB14_5 Depth=1
	s_or_b32 exec_lo, exec_lo, s1
	v_add_nc_u32_e32 v3, 8, v3
	v_add_co_u32 v4, s0, v4, 64
	v_add_co_ci_u32_e64 v5, null, 0, v5, s0
	v_cmp_ge_i32_e32 vcc_lo, v3, v8
	s_or_b32 s5, vcc_lo, s5
	s_andn2_b32 exec_lo, exec_lo, s5
	s_cbranch_execz .LBB14_20
.LBB14_5:                               ; =>This Inner Loop Header: Depth=1
	global_load_dwordx2 v[6:7], v[4:5], off offset:-4
                                        ; implicit-def: $vgpr10
	s_waitcnt vmcnt(0)
	v_cmp_gt_f32_e32 vcc_lo, 0, v6
	v_cndmask_b32_e64 v6, v6, -v6, vcc_lo
	v_cmp_gt_f32_e32 vcc_lo, 0, v7
	v_cndmask_b32_e64 v9, v7, -v7, vcc_lo
	v_cmp_ngt_f32_e64 s0, v6, v9
	s_and_saveexec_b32 s1, s0
	s_xor_b32 s7, exec_lo, s1
	s_cbranch_execz .LBB14_9
; %bb.6:                                ;   in Loop: Header=BB14_5 Depth=1
	v_mov_b32_e32 v10, 0
	s_mov_b32 s8, exec_lo
	v_cmpx_neq_f32_e32 0, v7
	s_cbranch_execz .LBB14_8
; %bb.7:                                ;   in Loop: Header=BB14_5 Depth=1
	v_div_scale_f32 v10, null, v9, v9, v6
	v_div_scale_f32 v13, vcc_lo, v6, v9, v6
	v_rcp_f32_e32 v11, v10
	v_fma_f32 v12, -v10, v11, 1.0
	v_fmac_f32_e32 v11, v12, v11
	v_mul_f32_e32 v12, v13, v11
	v_fma_f32 v14, -v10, v12, v13
	v_fmac_f32_e32 v12, v14, v11
	v_fma_f32 v10, -v10, v12, v13
	v_div_fmas_f32 v10, v10, v11, v12
	v_div_fixup_f32 v10, v10, v9, v6
	v_fma_f32 v10, v10, v10, 1.0
	v_mul_f32_e32 v11, 0x4f800000, v10
	v_cmp_gt_f32_e32 vcc_lo, 0xf800000, v10
	v_cndmask_b32_e32 v10, v10, v11, vcc_lo
	v_sqrt_f32_e32 v11, v10
	v_add_nc_u32_e32 v12, -1, v11
	v_add_nc_u32_e32 v13, 1, v11
	v_fma_f32 v14, -v12, v11, v10
	v_fma_f32 v15, -v13, v11, v10
	v_cmp_ge_f32_e64 s1, 0, v14
	v_cndmask_b32_e64 v11, v11, v12, s1
	v_cmp_lt_f32_e64 s1, 0, v15
	v_cndmask_b32_e64 v11, v11, v13, s1
	v_mul_f32_e32 v12, 0x37800000, v11
	v_cndmask_b32_e32 v11, v11, v12, vcc_lo
	v_cmp_class_f32_e64 vcc_lo, v10, 0x260
	v_cndmask_b32_e32 v10, v11, v10, vcc_lo
	v_mul_f32_e32 v10, v9, v10
.LBB14_8:                               ;   in Loop: Header=BB14_5 Depth=1
	s_or_b32 exec_lo, exec_lo, s8
.LBB14_9:                               ;   in Loop: Header=BB14_5 Depth=1
	s_andn2_saveexec_b32 s7, s7
	s_cbranch_execz .LBB14_11
; %bb.10:                               ;   in Loop: Header=BB14_5 Depth=1
	v_div_scale_f32 v10, null, v6, v6, v9
	v_div_scale_f32 v13, vcc_lo, v9, v6, v9
	v_rcp_f32_e32 v11, v10
	v_fma_f32 v12, -v10, v11, 1.0
	v_fmac_f32_e32 v11, v12, v11
	v_mul_f32_e32 v12, v13, v11
	v_fma_f32 v14, -v10, v12, v13
	v_fmac_f32_e32 v12, v14, v11
	v_fma_f32 v10, -v10, v12, v13
	v_div_fmas_f32 v10, v10, v11, v12
	v_div_fixup_f32 v10, v10, v6, v9
	v_fma_f32 v10, v10, v10, 1.0
	v_mul_f32_e32 v11, 0x4f800000, v10
	v_cmp_gt_f32_e32 vcc_lo, 0xf800000, v10
	v_cndmask_b32_e32 v10, v10, v11, vcc_lo
	v_sqrt_f32_e32 v11, v10
	v_add_nc_u32_e32 v12, -1, v11
	v_add_nc_u32_e32 v13, 1, v11
	v_fma_f32 v14, -v12, v11, v10
	v_fma_f32 v15, -v13, v11, v10
	v_cmp_ge_f32_e64 s1, 0, v14
	v_cndmask_b32_e64 v11, v11, v12, s1
	v_cmp_lt_f32_e64 s1, 0, v15
	v_cndmask_b32_e64 v11, v11, v13, s1
	v_mul_f32_e32 v12, 0x37800000, v11
	v_cndmask_b32_e32 v11, v11, v12, vcc_lo
	v_cmp_class_f32_e64 vcc_lo, v10, 0x260
	v_cndmask_b32_e32 v10, v11, v10, vcc_lo
	v_mul_f32_e32 v10, v6, v10
.LBB14_11:                              ;   in Loop: Header=BB14_5 Depth=1
	s_or_b32 exec_lo, exec_lo, s7
	s_mov_b32 s1, exec_lo
	v_cmpx_lt_f32_e32 s4, v10
	s_cbranch_execz .LBB14_4
; %bb.12:                               ;   in Loop: Header=BB14_5 Depth=1
                                        ; implicit-def: $vgpr10
	s_and_saveexec_b32 s7, s0
	s_xor_b32 s7, exec_lo, s7
	s_cbranch_execz .LBB14_16
; %bb.13:                               ;   in Loop: Header=BB14_5 Depth=1
	v_mov_b32_e32 v10, 0
	s_mov_b32 s8, exec_lo
	v_cmpx_neq_f32_e32 0, v7
	s_cbranch_execz .LBB14_15
; %bb.14:                               ;   in Loop: Header=BB14_5 Depth=1
	v_div_scale_f32 v7, null, v9, v9, v6
	v_div_scale_f32 v12, vcc_lo, v6, v9, v6
	v_rcp_f32_e32 v10, v7
	v_fma_f32 v11, -v7, v10, 1.0
	v_fmac_f32_e32 v10, v11, v10
	v_mul_f32_e32 v11, v12, v10
	v_fma_f32 v13, -v7, v11, v12
	v_fmac_f32_e32 v11, v13, v10
	v_fma_f32 v7, -v7, v11, v12
	v_div_fmas_f32 v7, v7, v10, v11
	v_div_fixup_f32 v6, v7, v9, v6
	v_fma_f32 v6, v6, v6, 1.0
	v_mul_f32_e32 v7, 0x4f800000, v6
	v_cmp_gt_f32_e32 vcc_lo, 0xf800000, v6
	v_cndmask_b32_e32 v6, v6, v7, vcc_lo
	v_sqrt_f32_e32 v7, v6
	v_add_nc_u32_e32 v10, -1, v7
	v_add_nc_u32_e32 v11, 1, v7
	v_fma_f32 v12, -v10, v7, v6
	v_fma_f32 v13, -v11, v7, v6
	v_cmp_ge_f32_e64 s0, 0, v12
	v_cndmask_b32_e64 v7, v7, v10, s0
	v_cmp_lt_f32_e64 s0, 0, v13
	v_cndmask_b32_e64 v7, v7, v11, s0
	v_mul_f32_e32 v10, 0x37800000, v7
	v_cndmask_b32_e32 v7, v7, v10, vcc_lo
	v_cmp_class_f32_e64 vcc_lo, v6, 0x260
	v_cndmask_b32_e32 v6, v7, v6, vcc_lo
	v_mul_f32_e32 v10, v9, v6
.LBB14_15:                              ;   in Loop: Header=BB14_5 Depth=1
	s_or_b32 exec_lo, exec_lo, s8
                                        ; implicit-def: $vgpr6
                                        ; implicit-def: $vgpr9
.LBB14_16:                              ;   in Loop: Header=BB14_5 Depth=1
	s_andn2_saveexec_b32 s7, s7
	s_cbranch_execz .LBB14_18
; %bb.17:                               ;   in Loop: Header=BB14_5 Depth=1
	v_div_scale_f32 v7, null, v6, v6, v9
	v_div_scale_f32 v12, vcc_lo, v9, v6, v9
	v_rcp_f32_e32 v10, v7
	v_fma_f32 v11, -v7, v10, 1.0
	v_fmac_f32_e32 v10, v11, v10
	v_mul_f32_e32 v11, v12, v10
	v_fma_f32 v13, -v7, v11, v12
	v_fmac_f32_e32 v11, v13, v10
	v_fma_f32 v7, -v7, v11, v12
	v_div_fmas_f32 v7, v7, v10, v11
	v_div_fixup_f32 v7, v7, v6, v9
	v_fma_f32 v7, v7, v7, 1.0
	v_mul_f32_e32 v9, 0x4f800000, v7
	v_cmp_gt_f32_e32 vcc_lo, 0xf800000, v7
	v_cndmask_b32_e32 v7, v7, v9, vcc_lo
	v_sqrt_f32_e32 v9, v7
	v_add_nc_u32_e32 v10, -1, v9
	v_add_nc_u32_e32 v11, 1, v9
	v_fma_f32 v12, -v10, v9, v7
	v_fma_f32 v13, -v11, v9, v7
	v_cmp_ge_f32_e64 s0, 0, v12
	v_cndmask_b32_e64 v9, v9, v10, s0
	v_cmp_lt_f32_e64 s0, 0, v13
	v_cndmask_b32_e64 v9, v9, v11, s0
	v_mul_f32_e32 v10, 0x37800000, v9
	v_cndmask_b32_e32 v9, v9, v10, vcc_lo
	v_cmp_class_f32_e64 vcc_lo, v7, 0x260
	v_cndmask_b32_e32 v7, v9, v7, vcc_lo
	v_mul_f32_e32 v10, v6, v7
.LBB14_18:                              ;   in Loop: Header=BB14_5 Depth=1
	s_or_b32 exec_lo, exec_lo, s7
	s_mov_b32 s0, exec_lo
	v_cmpx_lt_f32_e32 0x800000, v10
	s_cbranch_execz .LBB14_3
; %bb.19:                               ;   in Loop: Header=BB14_5 Depth=1
	v_add_nc_u32_e32 v0, 1, v0
	s_branch .LBB14_3
.LBB14_20:
	s_or_b32 exec_lo, exec_lo, s5
.LBB14_21:
	s_or_b32 exec_lo, exec_lo, s6
	v_mbcnt_lo_u32_b32 v3, -1, 0
	v_xor_b32_e32 v4, 4, v3
	v_xor_b32_e32 v5, 2, v3
	v_cmp_gt_i32_e32 vcc_lo, 32, v4
	v_cndmask_b32_e32 v4, v3, v4, vcc_lo
	v_cmp_gt_i32_e32 vcc_lo, 32, v5
	v_lshlrev_b32_e32 v4, 2, v4
	v_cndmask_b32_e32 v5, v3, v5, vcc_lo
	ds_bpermute_b32 v4, v4, v0
	v_lshlrev_b32_e32 v5, 2, v5
	s_waitcnt lgkmcnt(0)
	v_add_nc_u32_e32 v0, v4, v0
	ds_bpermute_b32 v4, v5, v0
	v_xor_b32_e32 v5, 1, v3
	v_cmp_gt_i32_e32 vcc_lo, 32, v5
	v_cndmask_b32_e32 v5, v3, v5, vcc_lo
	v_lshl_or_b32 v3, v3, 2, 28
	v_lshlrev_b32_e32 v5, 2, v5
	s_waitcnt lgkmcnt(0)
	v_add_nc_u32_e32 v0, v4, v0
	ds_bpermute_b32 v4, v5, v0
	s_waitcnt lgkmcnt(0)
	v_add_nc_u32_e32 v0, v4, v0
	ds_bpermute_b32 v3, v3, v0
	v_add_co_u32 v0, vcc_lo, s2, v1
	v_add_co_ci_u32_e64 v1, null, s3, v2, vcc_lo
	s_waitcnt lgkmcnt(0)
	global_store_dword v[0:1], v3, off
.LBB14_22:
	s_endpgm
	.section	.rodata,"a",@progbits
	.p2align	6, 0x0
	.amdhsa_kernel _ZN9rocsparseL19nnz_compress_kernelILi1024ELi128ELi8E21rocsparse_complex_numIfEEEvi21rocsparse_index_base_PKT2_PKiPiS4_
		.amdhsa_group_segment_fixed_size 0
		.amdhsa_private_segment_fixed_size 0
		.amdhsa_kernarg_size 40
		.amdhsa_user_sgpr_count 6
		.amdhsa_user_sgpr_private_segment_buffer 1
		.amdhsa_user_sgpr_dispatch_ptr 0
		.amdhsa_user_sgpr_queue_ptr 0
		.amdhsa_user_sgpr_kernarg_segment_ptr 1
		.amdhsa_user_sgpr_dispatch_id 0
		.amdhsa_user_sgpr_flat_scratch_init 0
		.amdhsa_user_sgpr_private_segment_size 0
		.amdhsa_wavefront_size32 1
		.amdhsa_uses_dynamic_stack 0
		.amdhsa_system_sgpr_private_segment_wavefront_offset 0
		.amdhsa_system_sgpr_workgroup_id_x 1
		.amdhsa_system_sgpr_workgroup_id_y 0
		.amdhsa_system_sgpr_workgroup_id_z 0
		.amdhsa_system_sgpr_workgroup_info 0
		.amdhsa_system_vgpr_workitem_id 0
		.amdhsa_next_free_vgpr 16
		.amdhsa_next_free_sgpr 10
		.amdhsa_reserve_vcc 1
		.amdhsa_reserve_flat_scratch 0
		.amdhsa_float_round_mode_32 0
		.amdhsa_float_round_mode_16_64 0
		.amdhsa_float_denorm_mode_32 3
		.amdhsa_float_denorm_mode_16_64 3
		.amdhsa_dx10_clamp 1
		.amdhsa_ieee_mode 1
		.amdhsa_fp16_overflow 0
		.amdhsa_workgroup_processor_mode 1
		.amdhsa_memory_ordered 1
		.amdhsa_forward_progress 1
		.amdhsa_shared_vgpr_count 0
		.amdhsa_exception_fp_ieee_invalid_op 0
		.amdhsa_exception_fp_denorm_src 0
		.amdhsa_exception_fp_ieee_div_zero 0
		.amdhsa_exception_fp_ieee_overflow 0
		.amdhsa_exception_fp_ieee_underflow 0
		.amdhsa_exception_fp_ieee_inexact 0
		.amdhsa_exception_int_div_zero 0
	.end_amdhsa_kernel
	.section	.text._ZN9rocsparseL19nnz_compress_kernelILi1024ELi128ELi8E21rocsparse_complex_numIfEEEvi21rocsparse_index_base_PKT2_PKiPiS4_,"axG",@progbits,_ZN9rocsparseL19nnz_compress_kernelILi1024ELi128ELi8E21rocsparse_complex_numIfEEEvi21rocsparse_index_base_PKT2_PKiPiS4_,comdat
.Lfunc_end14:
	.size	_ZN9rocsparseL19nnz_compress_kernelILi1024ELi128ELi8E21rocsparse_complex_numIfEEEvi21rocsparse_index_base_PKT2_PKiPiS4_, .Lfunc_end14-_ZN9rocsparseL19nnz_compress_kernelILi1024ELi128ELi8E21rocsparse_complex_numIfEEEvi21rocsparse_index_base_PKT2_PKiPiS4_
                                        ; -- End function
	.set _ZN9rocsparseL19nnz_compress_kernelILi1024ELi128ELi8E21rocsparse_complex_numIfEEEvi21rocsparse_index_base_PKT2_PKiPiS4_.num_vgpr, 16
	.set _ZN9rocsparseL19nnz_compress_kernelILi1024ELi128ELi8E21rocsparse_complex_numIfEEEvi21rocsparse_index_base_PKT2_PKiPiS4_.num_agpr, 0
	.set _ZN9rocsparseL19nnz_compress_kernelILi1024ELi128ELi8E21rocsparse_complex_numIfEEEvi21rocsparse_index_base_PKT2_PKiPiS4_.numbered_sgpr, 10
	.set _ZN9rocsparseL19nnz_compress_kernelILi1024ELi128ELi8E21rocsparse_complex_numIfEEEvi21rocsparse_index_base_PKT2_PKiPiS4_.num_named_barrier, 0
	.set _ZN9rocsparseL19nnz_compress_kernelILi1024ELi128ELi8E21rocsparse_complex_numIfEEEvi21rocsparse_index_base_PKT2_PKiPiS4_.private_seg_size, 0
	.set _ZN9rocsparseL19nnz_compress_kernelILi1024ELi128ELi8E21rocsparse_complex_numIfEEEvi21rocsparse_index_base_PKT2_PKiPiS4_.uses_vcc, 1
	.set _ZN9rocsparseL19nnz_compress_kernelILi1024ELi128ELi8E21rocsparse_complex_numIfEEEvi21rocsparse_index_base_PKT2_PKiPiS4_.uses_flat_scratch, 0
	.set _ZN9rocsparseL19nnz_compress_kernelILi1024ELi128ELi8E21rocsparse_complex_numIfEEEvi21rocsparse_index_base_PKT2_PKiPiS4_.has_dyn_sized_stack, 0
	.set _ZN9rocsparseL19nnz_compress_kernelILi1024ELi128ELi8E21rocsparse_complex_numIfEEEvi21rocsparse_index_base_PKT2_PKiPiS4_.has_recursion, 0
	.set _ZN9rocsparseL19nnz_compress_kernelILi1024ELi128ELi8E21rocsparse_complex_numIfEEEvi21rocsparse_index_base_PKT2_PKiPiS4_.has_indirect_call, 0
	.section	.AMDGPU.csdata,"",@progbits
; Kernel info:
; codeLenInByte = 1344
; TotalNumSgprs: 12
; NumVgprs: 16
; ScratchSize: 0
; MemoryBound: 0
; FloatMode: 240
; IeeeMode: 1
; LDSByteSize: 0 bytes/workgroup (compile time only)
; SGPRBlocks: 0
; VGPRBlocks: 1
; NumSGPRsForWavesPerEU: 12
; NumVGPRsForWavesPerEU: 16
; Occupancy: 16
; WaveLimiterHint : 0
; COMPUTE_PGM_RSRC2:SCRATCH_EN: 0
; COMPUTE_PGM_RSRC2:USER_SGPR: 6
; COMPUTE_PGM_RSRC2:TRAP_HANDLER: 0
; COMPUTE_PGM_RSRC2:TGID_X_EN: 1
; COMPUTE_PGM_RSRC2:TGID_Y_EN: 0
; COMPUTE_PGM_RSRC2:TGID_Z_EN: 0
; COMPUTE_PGM_RSRC2:TIDIG_COMP_CNT: 0
	.section	.text._ZN9rocsparseL19nnz_compress_kernelILi1024ELi64ELi16E21rocsparse_complex_numIfEEEvi21rocsparse_index_base_PKT2_PKiPiS4_,"axG",@progbits,_ZN9rocsparseL19nnz_compress_kernelILi1024ELi64ELi16E21rocsparse_complex_numIfEEEvi21rocsparse_index_base_PKT2_PKiPiS4_,comdat
	.globl	_ZN9rocsparseL19nnz_compress_kernelILi1024ELi64ELi16E21rocsparse_complex_numIfEEEvi21rocsparse_index_base_PKT2_PKiPiS4_ ; -- Begin function _ZN9rocsparseL19nnz_compress_kernelILi1024ELi64ELi16E21rocsparse_complex_numIfEEEvi21rocsparse_index_base_PKT2_PKiPiS4_
	.p2align	8
	.type	_ZN9rocsparseL19nnz_compress_kernelILi1024ELi64ELi16E21rocsparse_complex_numIfEEEvi21rocsparse_index_base_PKT2_PKiPiS4_,@function
_ZN9rocsparseL19nnz_compress_kernelILi1024ELi64ELi16E21rocsparse_complex_numIfEEEvi21rocsparse_index_base_PKT2_PKiPiS4_: ; @_ZN9rocsparseL19nnz_compress_kernelILi1024ELi64ELi16E21rocsparse_complex_numIfEEEvi21rocsparse_index_base_PKT2_PKiPiS4_
; %bb.0:
	s_load_dwordx2 s[8:9], s[4:5], 0x0
	v_lshrrev_b32_e32 v1, 4, v0
	s_mov_b32 s0, exec_lo
	v_lshl_or_b32 v1, s6, 6, v1
	s_waitcnt lgkmcnt(0)
	v_cmpx_gt_i32_e64 s8, v1
	s_cbranch_execz .LBB15_22
; %bb.1:
	s_load_dwordx4 s[0:3], s[4:5], 0x10
	v_ashrrev_i32_e32 v2, 31, v1
	v_and_b32_e32 v0, 15, v0
	s_mov_b32 s6, exec_lo
	v_lshlrev_b64 v[1:2], 2, v[1:2]
	v_subrev_nc_u32_e32 v0, s9, v0
	s_waitcnt lgkmcnt(0)
	v_add_co_u32 v3, vcc_lo, s0, v1
	v_add_co_ci_u32_e64 v4, null, s1, v2, vcc_lo
	global_load_dwordx2 v[3:4], v[3:4], off
	s_waitcnt vmcnt(0)
	v_subrev_nc_u32_e32 v8, s9, v4
	v_add_nc_u32_e32 v3, v3, v0
	v_mov_b32_e32 v0, 0
	v_cmpx_lt_i32_e64 v3, v8
	s_cbranch_execz .LBB15_21
; %bb.2:
	s_load_dwordx2 s[0:1], s[4:5], 0x8
	v_ashrrev_i32_e32 v4, 31, v3
	s_load_dword s4, s[4:5], 0x20
	s_mov_b32 s5, 0
	v_lshlrev_b64 v[4:5], 3, v[3:4]
	s_waitcnt lgkmcnt(0)
	v_add_co_u32 v0, vcc_lo, s0, v4
	v_add_co_ci_u32_e64 v5, null, s1, v5, vcc_lo
	v_add_co_u32 v4, vcc_lo, v0, 4
	v_add_co_ci_u32_e64 v5, null, 0, v5, vcc_lo
	v_mov_b32_e32 v0, 0
	s_branch .LBB15_5
.LBB15_3:                               ;   in Loop: Header=BB15_5 Depth=1
	s_or_b32 exec_lo, exec_lo, s0
.LBB15_4:                               ;   in Loop: Header=BB15_5 Depth=1
	s_or_b32 exec_lo, exec_lo, s1
	v_add_nc_u32_e32 v3, 16, v3
	v_add_co_u32 v4, s0, 0x80, v4
	v_add_co_ci_u32_e64 v5, null, 0, v5, s0
	v_cmp_ge_i32_e32 vcc_lo, v3, v8
	s_or_b32 s5, vcc_lo, s5
	s_andn2_b32 exec_lo, exec_lo, s5
	s_cbranch_execz .LBB15_20
.LBB15_5:                               ; =>This Inner Loop Header: Depth=1
	global_load_dwordx2 v[6:7], v[4:5], off offset:-4
                                        ; implicit-def: $vgpr10
	s_waitcnt vmcnt(0)
	v_cmp_gt_f32_e32 vcc_lo, 0, v6
	v_cndmask_b32_e64 v6, v6, -v6, vcc_lo
	v_cmp_gt_f32_e32 vcc_lo, 0, v7
	v_cndmask_b32_e64 v9, v7, -v7, vcc_lo
	v_cmp_ngt_f32_e64 s0, v6, v9
	s_and_saveexec_b32 s1, s0
	s_xor_b32 s7, exec_lo, s1
	s_cbranch_execz .LBB15_9
; %bb.6:                                ;   in Loop: Header=BB15_5 Depth=1
	v_mov_b32_e32 v10, 0
	s_mov_b32 s8, exec_lo
	v_cmpx_neq_f32_e32 0, v7
	s_cbranch_execz .LBB15_8
; %bb.7:                                ;   in Loop: Header=BB15_5 Depth=1
	v_div_scale_f32 v10, null, v9, v9, v6
	v_div_scale_f32 v13, vcc_lo, v6, v9, v6
	v_rcp_f32_e32 v11, v10
	v_fma_f32 v12, -v10, v11, 1.0
	v_fmac_f32_e32 v11, v12, v11
	v_mul_f32_e32 v12, v13, v11
	v_fma_f32 v14, -v10, v12, v13
	v_fmac_f32_e32 v12, v14, v11
	v_fma_f32 v10, -v10, v12, v13
	v_div_fmas_f32 v10, v10, v11, v12
	v_div_fixup_f32 v10, v10, v9, v6
	v_fma_f32 v10, v10, v10, 1.0
	v_mul_f32_e32 v11, 0x4f800000, v10
	v_cmp_gt_f32_e32 vcc_lo, 0xf800000, v10
	v_cndmask_b32_e32 v10, v10, v11, vcc_lo
	v_sqrt_f32_e32 v11, v10
	v_add_nc_u32_e32 v12, -1, v11
	v_add_nc_u32_e32 v13, 1, v11
	v_fma_f32 v14, -v12, v11, v10
	v_fma_f32 v15, -v13, v11, v10
	v_cmp_ge_f32_e64 s1, 0, v14
	v_cndmask_b32_e64 v11, v11, v12, s1
	v_cmp_lt_f32_e64 s1, 0, v15
	v_cndmask_b32_e64 v11, v11, v13, s1
	v_mul_f32_e32 v12, 0x37800000, v11
	v_cndmask_b32_e32 v11, v11, v12, vcc_lo
	v_cmp_class_f32_e64 vcc_lo, v10, 0x260
	v_cndmask_b32_e32 v10, v11, v10, vcc_lo
	v_mul_f32_e32 v10, v9, v10
.LBB15_8:                               ;   in Loop: Header=BB15_5 Depth=1
	s_or_b32 exec_lo, exec_lo, s8
.LBB15_9:                               ;   in Loop: Header=BB15_5 Depth=1
	s_andn2_saveexec_b32 s7, s7
	s_cbranch_execz .LBB15_11
; %bb.10:                               ;   in Loop: Header=BB15_5 Depth=1
	v_div_scale_f32 v10, null, v6, v6, v9
	v_div_scale_f32 v13, vcc_lo, v9, v6, v9
	v_rcp_f32_e32 v11, v10
	v_fma_f32 v12, -v10, v11, 1.0
	v_fmac_f32_e32 v11, v12, v11
	v_mul_f32_e32 v12, v13, v11
	v_fma_f32 v14, -v10, v12, v13
	v_fmac_f32_e32 v12, v14, v11
	v_fma_f32 v10, -v10, v12, v13
	v_div_fmas_f32 v10, v10, v11, v12
	v_div_fixup_f32 v10, v10, v6, v9
	v_fma_f32 v10, v10, v10, 1.0
	v_mul_f32_e32 v11, 0x4f800000, v10
	v_cmp_gt_f32_e32 vcc_lo, 0xf800000, v10
	v_cndmask_b32_e32 v10, v10, v11, vcc_lo
	v_sqrt_f32_e32 v11, v10
	v_add_nc_u32_e32 v12, -1, v11
	v_add_nc_u32_e32 v13, 1, v11
	v_fma_f32 v14, -v12, v11, v10
	v_fma_f32 v15, -v13, v11, v10
	v_cmp_ge_f32_e64 s1, 0, v14
	v_cndmask_b32_e64 v11, v11, v12, s1
	v_cmp_lt_f32_e64 s1, 0, v15
	v_cndmask_b32_e64 v11, v11, v13, s1
	v_mul_f32_e32 v12, 0x37800000, v11
	v_cndmask_b32_e32 v11, v11, v12, vcc_lo
	v_cmp_class_f32_e64 vcc_lo, v10, 0x260
	v_cndmask_b32_e32 v10, v11, v10, vcc_lo
	v_mul_f32_e32 v10, v6, v10
.LBB15_11:                              ;   in Loop: Header=BB15_5 Depth=1
	s_or_b32 exec_lo, exec_lo, s7
	s_mov_b32 s1, exec_lo
	v_cmpx_lt_f32_e32 s4, v10
	s_cbranch_execz .LBB15_4
; %bb.12:                               ;   in Loop: Header=BB15_5 Depth=1
                                        ; implicit-def: $vgpr10
	s_and_saveexec_b32 s7, s0
	s_xor_b32 s7, exec_lo, s7
	s_cbranch_execz .LBB15_16
; %bb.13:                               ;   in Loop: Header=BB15_5 Depth=1
	v_mov_b32_e32 v10, 0
	s_mov_b32 s8, exec_lo
	v_cmpx_neq_f32_e32 0, v7
	s_cbranch_execz .LBB15_15
; %bb.14:                               ;   in Loop: Header=BB15_5 Depth=1
	v_div_scale_f32 v7, null, v9, v9, v6
	v_div_scale_f32 v12, vcc_lo, v6, v9, v6
	v_rcp_f32_e32 v10, v7
	v_fma_f32 v11, -v7, v10, 1.0
	v_fmac_f32_e32 v10, v11, v10
	v_mul_f32_e32 v11, v12, v10
	v_fma_f32 v13, -v7, v11, v12
	v_fmac_f32_e32 v11, v13, v10
	v_fma_f32 v7, -v7, v11, v12
	v_div_fmas_f32 v7, v7, v10, v11
	v_div_fixup_f32 v6, v7, v9, v6
	v_fma_f32 v6, v6, v6, 1.0
	v_mul_f32_e32 v7, 0x4f800000, v6
	v_cmp_gt_f32_e32 vcc_lo, 0xf800000, v6
	v_cndmask_b32_e32 v6, v6, v7, vcc_lo
	v_sqrt_f32_e32 v7, v6
	v_add_nc_u32_e32 v10, -1, v7
	v_add_nc_u32_e32 v11, 1, v7
	v_fma_f32 v12, -v10, v7, v6
	v_fma_f32 v13, -v11, v7, v6
	v_cmp_ge_f32_e64 s0, 0, v12
	v_cndmask_b32_e64 v7, v7, v10, s0
	v_cmp_lt_f32_e64 s0, 0, v13
	v_cndmask_b32_e64 v7, v7, v11, s0
	v_mul_f32_e32 v10, 0x37800000, v7
	v_cndmask_b32_e32 v7, v7, v10, vcc_lo
	v_cmp_class_f32_e64 vcc_lo, v6, 0x260
	v_cndmask_b32_e32 v6, v7, v6, vcc_lo
	v_mul_f32_e32 v10, v9, v6
.LBB15_15:                              ;   in Loop: Header=BB15_5 Depth=1
	s_or_b32 exec_lo, exec_lo, s8
                                        ; implicit-def: $vgpr6
                                        ; implicit-def: $vgpr9
.LBB15_16:                              ;   in Loop: Header=BB15_5 Depth=1
	s_andn2_saveexec_b32 s7, s7
	s_cbranch_execz .LBB15_18
; %bb.17:                               ;   in Loop: Header=BB15_5 Depth=1
	v_div_scale_f32 v7, null, v6, v6, v9
	v_div_scale_f32 v12, vcc_lo, v9, v6, v9
	v_rcp_f32_e32 v10, v7
	v_fma_f32 v11, -v7, v10, 1.0
	v_fmac_f32_e32 v10, v11, v10
	v_mul_f32_e32 v11, v12, v10
	v_fma_f32 v13, -v7, v11, v12
	v_fmac_f32_e32 v11, v13, v10
	v_fma_f32 v7, -v7, v11, v12
	v_div_fmas_f32 v7, v7, v10, v11
	v_div_fixup_f32 v7, v7, v6, v9
	v_fma_f32 v7, v7, v7, 1.0
	v_mul_f32_e32 v9, 0x4f800000, v7
	v_cmp_gt_f32_e32 vcc_lo, 0xf800000, v7
	v_cndmask_b32_e32 v7, v7, v9, vcc_lo
	v_sqrt_f32_e32 v9, v7
	v_add_nc_u32_e32 v10, -1, v9
	v_add_nc_u32_e32 v11, 1, v9
	v_fma_f32 v12, -v10, v9, v7
	v_fma_f32 v13, -v11, v9, v7
	v_cmp_ge_f32_e64 s0, 0, v12
	v_cndmask_b32_e64 v9, v9, v10, s0
	v_cmp_lt_f32_e64 s0, 0, v13
	v_cndmask_b32_e64 v9, v9, v11, s0
	v_mul_f32_e32 v10, 0x37800000, v9
	v_cndmask_b32_e32 v9, v9, v10, vcc_lo
	v_cmp_class_f32_e64 vcc_lo, v7, 0x260
	v_cndmask_b32_e32 v7, v9, v7, vcc_lo
	v_mul_f32_e32 v10, v6, v7
.LBB15_18:                              ;   in Loop: Header=BB15_5 Depth=1
	s_or_b32 exec_lo, exec_lo, s7
	s_mov_b32 s0, exec_lo
	v_cmpx_lt_f32_e32 0x800000, v10
	s_cbranch_execz .LBB15_3
; %bb.19:                               ;   in Loop: Header=BB15_5 Depth=1
	v_add_nc_u32_e32 v0, 1, v0
	s_branch .LBB15_3
.LBB15_20:
	s_or_b32 exec_lo, exec_lo, s5
.LBB15_21:
	s_or_b32 exec_lo, exec_lo, s6
	v_mbcnt_lo_u32_b32 v3, -1, 0
	v_xor_b32_e32 v4, 8, v3
	v_xor_b32_e32 v5, 4, v3
	v_cmp_gt_i32_e32 vcc_lo, 32, v4
	v_cndmask_b32_e32 v4, v3, v4, vcc_lo
	v_cmp_gt_i32_e32 vcc_lo, 32, v5
	v_lshlrev_b32_e32 v4, 2, v4
	v_cndmask_b32_e32 v5, v3, v5, vcc_lo
	ds_bpermute_b32 v4, v4, v0
	v_lshlrev_b32_e32 v5, 2, v5
	s_waitcnt lgkmcnt(0)
	v_add_nc_u32_e32 v0, v4, v0
	ds_bpermute_b32 v4, v5, v0
	v_xor_b32_e32 v5, 2, v3
	v_cmp_gt_i32_e32 vcc_lo, 32, v5
	v_cndmask_b32_e32 v5, v3, v5, vcc_lo
	v_lshlrev_b32_e32 v5, 2, v5
	s_waitcnt lgkmcnt(0)
	v_add_nc_u32_e32 v0, v4, v0
	ds_bpermute_b32 v4, v5, v0
	v_xor_b32_e32 v5, 1, v3
	v_cmp_gt_i32_e32 vcc_lo, 32, v5
	v_cndmask_b32_e32 v5, v3, v5, vcc_lo
	v_lshl_or_b32 v3, v3, 2, 60
	v_lshlrev_b32_e32 v5, 2, v5
	s_waitcnt lgkmcnt(0)
	v_add_nc_u32_e32 v0, v4, v0
	ds_bpermute_b32 v4, v5, v0
	s_waitcnt lgkmcnt(0)
	v_add_nc_u32_e32 v0, v4, v0
	ds_bpermute_b32 v3, v3, v0
	v_add_co_u32 v0, vcc_lo, s2, v1
	v_add_co_ci_u32_e64 v1, null, s3, v2, vcc_lo
	s_waitcnt lgkmcnt(0)
	global_store_dword v[0:1], v3, off
.LBB15_22:
	s_endpgm
	.section	.rodata,"a",@progbits
	.p2align	6, 0x0
	.amdhsa_kernel _ZN9rocsparseL19nnz_compress_kernelILi1024ELi64ELi16E21rocsparse_complex_numIfEEEvi21rocsparse_index_base_PKT2_PKiPiS4_
		.amdhsa_group_segment_fixed_size 0
		.amdhsa_private_segment_fixed_size 0
		.amdhsa_kernarg_size 40
		.amdhsa_user_sgpr_count 6
		.amdhsa_user_sgpr_private_segment_buffer 1
		.amdhsa_user_sgpr_dispatch_ptr 0
		.amdhsa_user_sgpr_queue_ptr 0
		.amdhsa_user_sgpr_kernarg_segment_ptr 1
		.amdhsa_user_sgpr_dispatch_id 0
		.amdhsa_user_sgpr_flat_scratch_init 0
		.amdhsa_user_sgpr_private_segment_size 0
		.amdhsa_wavefront_size32 1
		.amdhsa_uses_dynamic_stack 0
		.amdhsa_system_sgpr_private_segment_wavefront_offset 0
		.amdhsa_system_sgpr_workgroup_id_x 1
		.amdhsa_system_sgpr_workgroup_id_y 0
		.amdhsa_system_sgpr_workgroup_id_z 0
		.amdhsa_system_sgpr_workgroup_info 0
		.amdhsa_system_vgpr_workitem_id 0
		.amdhsa_next_free_vgpr 16
		.amdhsa_next_free_sgpr 10
		.amdhsa_reserve_vcc 1
		.amdhsa_reserve_flat_scratch 0
		.amdhsa_float_round_mode_32 0
		.amdhsa_float_round_mode_16_64 0
		.amdhsa_float_denorm_mode_32 3
		.amdhsa_float_denorm_mode_16_64 3
		.amdhsa_dx10_clamp 1
		.amdhsa_ieee_mode 1
		.amdhsa_fp16_overflow 0
		.amdhsa_workgroup_processor_mode 1
		.amdhsa_memory_ordered 1
		.amdhsa_forward_progress 1
		.amdhsa_shared_vgpr_count 0
		.amdhsa_exception_fp_ieee_invalid_op 0
		.amdhsa_exception_fp_denorm_src 0
		.amdhsa_exception_fp_ieee_div_zero 0
		.amdhsa_exception_fp_ieee_overflow 0
		.amdhsa_exception_fp_ieee_underflow 0
		.amdhsa_exception_fp_ieee_inexact 0
		.amdhsa_exception_int_div_zero 0
	.end_amdhsa_kernel
	.section	.text._ZN9rocsparseL19nnz_compress_kernelILi1024ELi64ELi16E21rocsparse_complex_numIfEEEvi21rocsparse_index_base_PKT2_PKiPiS4_,"axG",@progbits,_ZN9rocsparseL19nnz_compress_kernelILi1024ELi64ELi16E21rocsparse_complex_numIfEEEvi21rocsparse_index_base_PKT2_PKiPiS4_,comdat
.Lfunc_end15:
	.size	_ZN9rocsparseL19nnz_compress_kernelILi1024ELi64ELi16E21rocsparse_complex_numIfEEEvi21rocsparse_index_base_PKT2_PKiPiS4_, .Lfunc_end15-_ZN9rocsparseL19nnz_compress_kernelILi1024ELi64ELi16E21rocsparse_complex_numIfEEEvi21rocsparse_index_base_PKT2_PKiPiS4_
                                        ; -- End function
	.set _ZN9rocsparseL19nnz_compress_kernelILi1024ELi64ELi16E21rocsparse_complex_numIfEEEvi21rocsparse_index_base_PKT2_PKiPiS4_.num_vgpr, 16
	.set _ZN9rocsparseL19nnz_compress_kernelILi1024ELi64ELi16E21rocsparse_complex_numIfEEEvi21rocsparse_index_base_PKT2_PKiPiS4_.num_agpr, 0
	.set _ZN9rocsparseL19nnz_compress_kernelILi1024ELi64ELi16E21rocsparse_complex_numIfEEEvi21rocsparse_index_base_PKT2_PKiPiS4_.numbered_sgpr, 10
	.set _ZN9rocsparseL19nnz_compress_kernelILi1024ELi64ELi16E21rocsparse_complex_numIfEEEvi21rocsparse_index_base_PKT2_PKiPiS4_.num_named_barrier, 0
	.set _ZN9rocsparseL19nnz_compress_kernelILi1024ELi64ELi16E21rocsparse_complex_numIfEEEvi21rocsparse_index_base_PKT2_PKiPiS4_.private_seg_size, 0
	.set _ZN9rocsparseL19nnz_compress_kernelILi1024ELi64ELi16E21rocsparse_complex_numIfEEEvi21rocsparse_index_base_PKT2_PKiPiS4_.uses_vcc, 1
	.set _ZN9rocsparseL19nnz_compress_kernelILi1024ELi64ELi16E21rocsparse_complex_numIfEEEvi21rocsparse_index_base_PKT2_PKiPiS4_.uses_flat_scratch, 0
	.set _ZN9rocsparseL19nnz_compress_kernelILi1024ELi64ELi16E21rocsparse_complex_numIfEEEvi21rocsparse_index_base_PKT2_PKiPiS4_.has_dyn_sized_stack, 0
	.set _ZN9rocsparseL19nnz_compress_kernelILi1024ELi64ELi16E21rocsparse_complex_numIfEEEvi21rocsparse_index_base_PKT2_PKiPiS4_.has_recursion, 0
	.set _ZN9rocsparseL19nnz_compress_kernelILi1024ELi64ELi16E21rocsparse_complex_numIfEEEvi21rocsparse_index_base_PKT2_PKiPiS4_.has_indirect_call, 0
	.section	.AMDGPU.csdata,"",@progbits
; Kernel info:
; codeLenInByte = 1380
; TotalNumSgprs: 12
; NumVgprs: 16
; ScratchSize: 0
; MemoryBound: 0
; FloatMode: 240
; IeeeMode: 1
; LDSByteSize: 0 bytes/workgroup (compile time only)
; SGPRBlocks: 0
; VGPRBlocks: 1
; NumSGPRsForWavesPerEU: 12
; NumVGPRsForWavesPerEU: 16
; Occupancy: 16
; WaveLimiterHint : 0
; COMPUTE_PGM_RSRC2:SCRATCH_EN: 0
; COMPUTE_PGM_RSRC2:USER_SGPR: 6
; COMPUTE_PGM_RSRC2:TRAP_HANDLER: 0
; COMPUTE_PGM_RSRC2:TGID_X_EN: 1
; COMPUTE_PGM_RSRC2:TGID_Y_EN: 0
; COMPUTE_PGM_RSRC2:TGID_Z_EN: 0
; COMPUTE_PGM_RSRC2:TIDIG_COMP_CNT: 0
	.section	.text._ZN9rocsparseL19nnz_compress_kernelILi1024ELi32ELi32E21rocsparse_complex_numIfEEEvi21rocsparse_index_base_PKT2_PKiPiS4_,"axG",@progbits,_ZN9rocsparseL19nnz_compress_kernelILi1024ELi32ELi32E21rocsparse_complex_numIfEEEvi21rocsparse_index_base_PKT2_PKiPiS4_,comdat
	.globl	_ZN9rocsparseL19nnz_compress_kernelILi1024ELi32ELi32E21rocsparse_complex_numIfEEEvi21rocsparse_index_base_PKT2_PKiPiS4_ ; -- Begin function _ZN9rocsparseL19nnz_compress_kernelILi1024ELi32ELi32E21rocsparse_complex_numIfEEEvi21rocsparse_index_base_PKT2_PKiPiS4_
	.p2align	8
	.type	_ZN9rocsparseL19nnz_compress_kernelILi1024ELi32ELi32E21rocsparse_complex_numIfEEEvi21rocsparse_index_base_PKT2_PKiPiS4_,@function
_ZN9rocsparseL19nnz_compress_kernelILi1024ELi32ELi32E21rocsparse_complex_numIfEEEvi21rocsparse_index_base_PKT2_PKiPiS4_: ; @_ZN9rocsparseL19nnz_compress_kernelILi1024ELi32ELi32E21rocsparse_complex_numIfEEEvi21rocsparse_index_base_PKT2_PKiPiS4_
; %bb.0:
	s_load_dwordx2 s[8:9], s[4:5], 0x0
	v_lshrrev_b32_e32 v1, 5, v0
	s_mov_b32 s0, exec_lo
	v_lshl_or_b32 v1, s6, 5, v1
	s_waitcnt lgkmcnt(0)
	v_cmpx_gt_i32_e64 s8, v1
	s_cbranch_execz .LBB16_22
; %bb.1:
	s_load_dwordx4 s[0:3], s[4:5], 0x10
	v_ashrrev_i32_e32 v2, 31, v1
	v_and_b32_e32 v0, 31, v0
	s_mov_b32 s6, exec_lo
	v_lshlrev_b64 v[1:2], 2, v[1:2]
	v_subrev_nc_u32_e32 v0, s9, v0
	s_waitcnt lgkmcnt(0)
	v_add_co_u32 v3, vcc_lo, s0, v1
	v_add_co_ci_u32_e64 v4, null, s1, v2, vcc_lo
	global_load_dwordx2 v[3:4], v[3:4], off
	s_waitcnt vmcnt(0)
	v_subrev_nc_u32_e32 v8, s9, v4
	v_add_nc_u32_e32 v3, v3, v0
	v_mov_b32_e32 v0, 0
	v_cmpx_lt_i32_e64 v3, v8
	s_cbranch_execz .LBB16_21
; %bb.2:
	s_load_dwordx2 s[0:1], s[4:5], 0x8
	v_ashrrev_i32_e32 v4, 31, v3
	s_load_dword s4, s[4:5], 0x20
	s_mov_b32 s5, 0
	v_lshlrev_b64 v[4:5], 3, v[3:4]
	s_waitcnt lgkmcnt(0)
	v_add_co_u32 v0, vcc_lo, s0, v4
	v_add_co_ci_u32_e64 v5, null, s1, v5, vcc_lo
	v_add_co_u32 v4, vcc_lo, v0, 4
	v_add_co_ci_u32_e64 v5, null, 0, v5, vcc_lo
	v_mov_b32_e32 v0, 0
	s_branch .LBB16_5
.LBB16_3:                               ;   in Loop: Header=BB16_5 Depth=1
	s_or_b32 exec_lo, exec_lo, s0
.LBB16_4:                               ;   in Loop: Header=BB16_5 Depth=1
	s_or_b32 exec_lo, exec_lo, s1
	v_add_nc_u32_e32 v3, 32, v3
	v_add_co_u32 v4, s0, 0x100, v4
	v_add_co_ci_u32_e64 v5, null, 0, v5, s0
	v_cmp_ge_i32_e32 vcc_lo, v3, v8
	s_or_b32 s5, vcc_lo, s5
	s_andn2_b32 exec_lo, exec_lo, s5
	s_cbranch_execz .LBB16_20
.LBB16_5:                               ; =>This Inner Loop Header: Depth=1
	global_load_dwordx2 v[6:7], v[4:5], off offset:-4
                                        ; implicit-def: $vgpr10
	s_waitcnt vmcnt(0)
	v_cmp_gt_f32_e32 vcc_lo, 0, v6
	v_cndmask_b32_e64 v6, v6, -v6, vcc_lo
	v_cmp_gt_f32_e32 vcc_lo, 0, v7
	v_cndmask_b32_e64 v9, v7, -v7, vcc_lo
	v_cmp_ngt_f32_e64 s0, v6, v9
	s_and_saveexec_b32 s1, s0
	s_xor_b32 s7, exec_lo, s1
	s_cbranch_execz .LBB16_9
; %bb.6:                                ;   in Loop: Header=BB16_5 Depth=1
	v_mov_b32_e32 v10, 0
	s_mov_b32 s8, exec_lo
	v_cmpx_neq_f32_e32 0, v7
	s_cbranch_execz .LBB16_8
; %bb.7:                                ;   in Loop: Header=BB16_5 Depth=1
	v_div_scale_f32 v10, null, v9, v9, v6
	v_div_scale_f32 v13, vcc_lo, v6, v9, v6
	v_rcp_f32_e32 v11, v10
	v_fma_f32 v12, -v10, v11, 1.0
	v_fmac_f32_e32 v11, v12, v11
	v_mul_f32_e32 v12, v13, v11
	v_fma_f32 v14, -v10, v12, v13
	v_fmac_f32_e32 v12, v14, v11
	v_fma_f32 v10, -v10, v12, v13
	v_div_fmas_f32 v10, v10, v11, v12
	v_div_fixup_f32 v10, v10, v9, v6
	v_fma_f32 v10, v10, v10, 1.0
	v_mul_f32_e32 v11, 0x4f800000, v10
	v_cmp_gt_f32_e32 vcc_lo, 0xf800000, v10
	v_cndmask_b32_e32 v10, v10, v11, vcc_lo
	v_sqrt_f32_e32 v11, v10
	v_add_nc_u32_e32 v12, -1, v11
	v_add_nc_u32_e32 v13, 1, v11
	v_fma_f32 v14, -v12, v11, v10
	v_fma_f32 v15, -v13, v11, v10
	v_cmp_ge_f32_e64 s1, 0, v14
	v_cndmask_b32_e64 v11, v11, v12, s1
	v_cmp_lt_f32_e64 s1, 0, v15
	v_cndmask_b32_e64 v11, v11, v13, s1
	v_mul_f32_e32 v12, 0x37800000, v11
	v_cndmask_b32_e32 v11, v11, v12, vcc_lo
	v_cmp_class_f32_e64 vcc_lo, v10, 0x260
	v_cndmask_b32_e32 v10, v11, v10, vcc_lo
	v_mul_f32_e32 v10, v9, v10
.LBB16_8:                               ;   in Loop: Header=BB16_5 Depth=1
	s_or_b32 exec_lo, exec_lo, s8
.LBB16_9:                               ;   in Loop: Header=BB16_5 Depth=1
	s_andn2_saveexec_b32 s7, s7
	s_cbranch_execz .LBB16_11
; %bb.10:                               ;   in Loop: Header=BB16_5 Depth=1
	v_div_scale_f32 v10, null, v6, v6, v9
	v_div_scale_f32 v13, vcc_lo, v9, v6, v9
	v_rcp_f32_e32 v11, v10
	v_fma_f32 v12, -v10, v11, 1.0
	v_fmac_f32_e32 v11, v12, v11
	v_mul_f32_e32 v12, v13, v11
	v_fma_f32 v14, -v10, v12, v13
	v_fmac_f32_e32 v12, v14, v11
	v_fma_f32 v10, -v10, v12, v13
	v_div_fmas_f32 v10, v10, v11, v12
	v_div_fixup_f32 v10, v10, v6, v9
	v_fma_f32 v10, v10, v10, 1.0
	v_mul_f32_e32 v11, 0x4f800000, v10
	v_cmp_gt_f32_e32 vcc_lo, 0xf800000, v10
	v_cndmask_b32_e32 v10, v10, v11, vcc_lo
	v_sqrt_f32_e32 v11, v10
	v_add_nc_u32_e32 v12, -1, v11
	v_add_nc_u32_e32 v13, 1, v11
	v_fma_f32 v14, -v12, v11, v10
	v_fma_f32 v15, -v13, v11, v10
	v_cmp_ge_f32_e64 s1, 0, v14
	v_cndmask_b32_e64 v11, v11, v12, s1
	v_cmp_lt_f32_e64 s1, 0, v15
	v_cndmask_b32_e64 v11, v11, v13, s1
	v_mul_f32_e32 v12, 0x37800000, v11
	v_cndmask_b32_e32 v11, v11, v12, vcc_lo
	v_cmp_class_f32_e64 vcc_lo, v10, 0x260
	v_cndmask_b32_e32 v10, v11, v10, vcc_lo
	v_mul_f32_e32 v10, v6, v10
.LBB16_11:                              ;   in Loop: Header=BB16_5 Depth=1
	s_or_b32 exec_lo, exec_lo, s7
	s_mov_b32 s1, exec_lo
	v_cmpx_lt_f32_e32 s4, v10
	s_cbranch_execz .LBB16_4
; %bb.12:                               ;   in Loop: Header=BB16_5 Depth=1
                                        ; implicit-def: $vgpr10
	s_and_saveexec_b32 s7, s0
	s_xor_b32 s7, exec_lo, s7
	s_cbranch_execz .LBB16_16
; %bb.13:                               ;   in Loop: Header=BB16_5 Depth=1
	v_mov_b32_e32 v10, 0
	s_mov_b32 s8, exec_lo
	v_cmpx_neq_f32_e32 0, v7
	s_cbranch_execz .LBB16_15
; %bb.14:                               ;   in Loop: Header=BB16_5 Depth=1
	v_div_scale_f32 v7, null, v9, v9, v6
	v_div_scale_f32 v12, vcc_lo, v6, v9, v6
	v_rcp_f32_e32 v10, v7
	v_fma_f32 v11, -v7, v10, 1.0
	v_fmac_f32_e32 v10, v11, v10
	v_mul_f32_e32 v11, v12, v10
	v_fma_f32 v13, -v7, v11, v12
	v_fmac_f32_e32 v11, v13, v10
	v_fma_f32 v7, -v7, v11, v12
	v_div_fmas_f32 v7, v7, v10, v11
	v_div_fixup_f32 v6, v7, v9, v6
	v_fma_f32 v6, v6, v6, 1.0
	v_mul_f32_e32 v7, 0x4f800000, v6
	v_cmp_gt_f32_e32 vcc_lo, 0xf800000, v6
	v_cndmask_b32_e32 v6, v6, v7, vcc_lo
	v_sqrt_f32_e32 v7, v6
	v_add_nc_u32_e32 v10, -1, v7
	v_add_nc_u32_e32 v11, 1, v7
	v_fma_f32 v12, -v10, v7, v6
	v_fma_f32 v13, -v11, v7, v6
	v_cmp_ge_f32_e64 s0, 0, v12
	v_cndmask_b32_e64 v7, v7, v10, s0
	v_cmp_lt_f32_e64 s0, 0, v13
	v_cndmask_b32_e64 v7, v7, v11, s0
	v_mul_f32_e32 v10, 0x37800000, v7
	v_cndmask_b32_e32 v7, v7, v10, vcc_lo
	v_cmp_class_f32_e64 vcc_lo, v6, 0x260
	v_cndmask_b32_e32 v6, v7, v6, vcc_lo
	v_mul_f32_e32 v10, v9, v6
.LBB16_15:                              ;   in Loop: Header=BB16_5 Depth=1
	s_or_b32 exec_lo, exec_lo, s8
                                        ; implicit-def: $vgpr6
                                        ; implicit-def: $vgpr9
.LBB16_16:                              ;   in Loop: Header=BB16_5 Depth=1
	s_andn2_saveexec_b32 s7, s7
	s_cbranch_execz .LBB16_18
; %bb.17:                               ;   in Loop: Header=BB16_5 Depth=1
	v_div_scale_f32 v7, null, v6, v6, v9
	v_div_scale_f32 v12, vcc_lo, v9, v6, v9
	v_rcp_f32_e32 v10, v7
	v_fma_f32 v11, -v7, v10, 1.0
	v_fmac_f32_e32 v10, v11, v10
	v_mul_f32_e32 v11, v12, v10
	v_fma_f32 v13, -v7, v11, v12
	v_fmac_f32_e32 v11, v13, v10
	v_fma_f32 v7, -v7, v11, v12
	v_div_fmas_f32 v7, v7, v10, v11
	v_div_fixup_f32 v7, v7, v6, v9
	v_fma_f32 v7, v7, v7, 1.0
	v_mul_f32_e32 v9, 0x4f800000, v7
	v_cmp_gt_f32_e32 vcc_lo, 0xf800000, v7
	v_cndmask_b32_e32 v7, v7, v9, vcc_lo
	v_sqrt_f32_e32 v9, v7
	v_add_nc_u32_e32 v10, -1, v9
	v_add_nc_u32_e32 v11, 1, v9
	v_fma_f32 v12, -v10, v9, v7
	v_fma_f32 v13, -v11, v9, v7
	v_cmp_ge_f32_e64 s0, 0, v12
	v_cndmask_b32_e64 v9, v9, v10, s0
	v_cmp_lt_f32_e64 s0, 0, v13
	v_cndmask_b32_e64 v9, v9, v11, s0
	v_mul_f32_e32 v10, 0x37800000, v9
	v_cndmask_b32_e32 v9, v9, v10, vcc_lo
	v_cmp_class_f32_e64 vcc_lo, v7, 0x260
	v_cndmask_b32_e32 v7, v9, v7, vcc_lo
	v_mul_f32_e32 v10, v6, v7
.LBB16_18:                              ;   in Loop: Header=BB16_5 Depth=1
	s_or_b32 exec_lo, exec_lo, s7
	s_mov_b32 s0, exec_lo
	v_cmpx_lt_f32_e32 0x800000, v10
	s_cbranch_execz .LBB16_3
; %bb.19:                               ;   in Loop: Header=BB16_5 Depth=1
	v_add_nc_u32_e32 v0, 1, v0
	s_branch .LBB16_3
.LBB16_20:
	s_or_b32 exec_lo, exec_lo, s5
.LBB16_21:
	s_or_b32 exec_lo, exec_lo, s6
	v_mbcnt_lo_u32_b32 v3, -1, 0
	v_xor_b32_e32 v4, 16, v3
	v_xor_b32_e32 v5, 8, v3
	v_cmp_gt_i32_e32 vcc_lo, 32, v4
	v_cndmask_b32_e32 v4, v3, v4, vcc_lo
	v_cmp_gt_i32_e32 vcc_lo, 32, v5
	v_lshlrev_b32_e32 v4, 2, v4
	v_cndmask_b32_e32 v5, v3, v5, vcc_lo
	ds_bpermute_b32 v4, v4, v0
	v_lshlrev_b32_e32 v5, 2, v5
	s_waitcnt lgkmcnt(0)
	v_add_nc_u32_e32 v0, v4, v0
	ds_bpermute_b32 v4, v5, v0
	v_xor_b32_e32 v5, 4, v3
	v_cmp_gt_i32_e32 vcc_lo, 32, v5
	v_cndmask_b32_e32 v5, v3, v5, vcc_lo
	v_lshlrev_b32_e32 v5, 2, v5
	s_waitcnt lgkmcnt(0)
	v_add_nc_u32_e32 v0, v4, v0
	ds_bpermute_b32 v4, v5, v0
	v_xor_b32_e32 v5, 2, v3
	v_cmp_gt_i32_e32 vcc_lo, 32, v5
	v_cndmask_b32_e32 v5, v3, v5, vcc_lo
	;; [unrolled: 7-line block ×3, first 2 shown]
	v_lshlrev_b32_e32 v3, 2, v3
	s_waitcnt lgkmcnt(0)
	v_add_nc_u32_e32 v0, v4, v0
	ds_bpermute_b32 v3, v3, v0
	s_waitcnt lgkmcnt(0)
	v_add_nc_u32_e32 v0, v3, v0
	v_mov_b32_e32 v3, 0
	ds_bpermute_b32 v3, v3, v0 offset:124
	v_add_co_u32 v0, vcc_lo, s2, v1
	v_add_co_ci_u32_e64 v1, null, s3, v2, vcc_lo
	s_waitcnt lgkmcnt(0)
	global_store_dword v[0:1], v3, off
.LBB16_22:
	s_endpgm
	.section	.rodata,"a",@progbits
	.p2align	6, 0x0
	.amdhsa_kernel _ZN9rocsparseL19nnz_compress_kernelILi1024ELi32ELi32E21rocsparse_complex_numIfEEEvi21rocsparse_index_base_PKT2_PKiPiS4_
		.amdhsa_group_segment_fixed_size 0
		.amdhsa_private_segment_fixed_size 0
		.amdhsa_kernarg_size 40
		.amdhsa_user_sgpr_count 6
		.amdhsa_user_sgpr_private_segment_buffer 1
		.amdhsa_user_sgpr_dispatch_ptr 0
		.amdhsa_user_sgpr_queue_ptr 0
		.amdhsa_user_sgpr_kernarg_segment_ptr 1
		.amdhsa_user_sgpr_dispatch_id 0
		.amdhsa_user_sgpr_flat_scratch_init 0
		.amdhsa_user_sgpr_private_segment_size 0
		.amdhsa_wavefront_size32 1
		.amdhsa_uses_dynamic_stack 0
		.amdhsa_system_sgpr_private_segment_wavefront_offset 0
		.amdhsa_system_sgpr_workgroup_id_x 1
		.amdhsa_system_sgpr_workgroup_id_y 0
		.amdhsa_system_sgpr_workgroup_id_z 0
		.amdhsa_system_sgpr_workgroup_info 0
		.amdhsa_system_vgpr_workitem_id 0
		.amdhsa_next_free_vgpr 16
		.amdhsa_next_free_sgpr 10
		.amdhsa_reserve_vcc 1
		.amdhsa_reserve_flat_scratch 0
		.amdhsa_float_round_mode_32 0
		.amdhsa_float_round_mode_16_64 0
		.amdhsa_float_denorm_mode_32 3
		.amdhsa_float_denorm_mode_16_64 3
		.amdhsa_dx10_clamp 1
		.amdhsa_ieee_mode 1
		.amdhsa_fp16_overflow 0
		.amdhsa_workgroup_processor_mode 1
		.amdhsa_memory_ordered 1
		.amdhsa_forward_progress 1
		.amdhsa_shared_vgpr_count 0
		.amdhsa_exception_fp_ieee_invalid_op 0
		.amdhsa_exception_fp_denorm_src 0
		.amdhsa_exception_fp_ieee_div_zero 0
		.amdhsa_exception_fp_ieee_overflow 0
		.amdhsa_exception_fp_ieee_underflow 0
		.amdhsa_exception_fp_ieee_inexact 0
		.amdhsa_exception_int_div_zero 0
	.end_amdhsa_kernel
	.section	.text._ZN9rocsparseL19nnz_compress_kernelILi1024ELi32ELi32E21rocsparse_complex_numIfEEEvi21rocsparse_index_base_PKT2_PKiPiS4_,"axG",@progbits,_ZN9rocsparseL19nnz_compress_kernelILi1024ELi32ELi32E21rocsparse_complex_numIfEEEvi21rocsparse_index_base_PKT2_PKiPiS4_,comdat
.Lfunc_end16:
	.size	_ZN9rocsparseL19nnz_compress_kernelILi1024ELi32ELi32E21rocsparse_complex_numIfEEEvi21rocsparse_index_base_PKT2_PKiPiS4_, .Lfunc_end16-_ZN9rocsparseL19nnz_compress_kernelILi1024ELi32ELi32E21rocsparse_complex_numIfEEEvi21rocsparse_index_base_PKT2_PKiPiS4_
                                        ; -- End function
	.set _ZN9rocsparseL19nnz_compress_kernelILi1024ELi32ELi32E21rocsparse_complex_numIfEEEvi21rocsparse_index_base_PKT2_PKiPiS4_.num_vgpr, 16
	.set _ZN9rocsparseL19nnz_compress_kernelILi1024ELi32ELi32E21rocsparse_complex_numIfEEEvi21rocsparse_index_base_PKT2_PKiPiS4_.num_agpr, 0
	.set _ZN9rocsparseL19nnz_compress_kernelILi1024ELi32ELi32E21rocsparse_complex_numIfEEEvi21rocsparse_index_base_PKT2_PKiPiS4_.numbered_sgpr, 10
	.set _ZN9rocsparseL19nnz_compress_kernelILi1024ELi32ELi32E21rocsparse_complex_numIfEEEvi21rocsparse_index_base_PKT2_PKiPiS4_.num_named_barrier, 0
	.set _ZN9rocsparseL19nnz_compress_kernelILi1024ELi32ELi32E21rocsparse_complex_numIfEEEvi21rocsparse_index_base_PKT2_PKiPiS4_.private_seg_size, 0
	.set _ZN9rocsparseL19nnz_compress_kernelILi1024ELi32ELi32E21rocsparse_complex_numIfEEEvi21rocsparse_index_base_PKT2_PKiPiS4_.uses_vcc, 1
	.set _ZN9rocsparseL19nnz_compress_kernelILi1024ELi32ELi32E21rocsparse_complex_numIfEEEvi21rocsparse_index_base_PKT2_PKiPiS4_.uses_flat_scratch, 0
	.set _ZN9rocsparseL19nnz_compress_kernelILi1024ELi32ELi32E21rocsparse_complex_numIfEEEvi21rocsparse_index_base_PKT2_PKiPiS4_.has_dyn_sized_stack, 0
	.set _ZN9rocsparseL19nnz_compress_kernelILi1024ELi32ELi32E21rocsparse_complex_numIfEEEvi21rocsparse_index_base_PKT2_PKiPiS4_.has_recursion, 0
	.set _ZN9rocsparseL19nnz_compress_kernelILi1024ELi32ELi32E21rocsparse_complex_numIfEEEvi21rocsparse_index_base_PKT2_PKiPiS4_.has_indirect_call, 0
	.section	.AMDGPU.csdata,"",@progbits
; Kernel info:
; codeLenInByte = 1408
; TotalNumSgprs: 12
; NumVgprs: 16
; ScratchSize: 0
; MemoryBound: 0
; FloatMode: 240
; IeeeMode: 1
; LDSByteSize: 0 bytes/workgroup (compile time only)
; SGPRBlocks: 0
; VGPRBlocks: 1
; NumSGPRsForWavesPerEU: 12
; NumVGPRsForWavesPerEU: 16
; Occupancy: 16
; WaveLimiterHint : 0
; COMPUTE_PGM_RSRC2:SCRATCH_EN: 0
; COMPUTE_PGM_RSRC2:USER_SGPR: 6
; COMPUTE_PGM_RSRC2:TRAP_HANDLER: 0
; COMPUTE_PGM_RSRC2:TGID_X_EN: 1
; COMPUTE_PGM_RSRC2:TGID_Y_EN: 0
; COMPUTE_PGM_RSRC2:TGID_Z_EN: 0
; COMPUTE_PGM_RSRC2:TIDIG_COMP_CNT: 0
	.section	.text._ZN9rocsparseL19nnz_compress_kernelILi1024ELi16ELi64E21rocsparse_complex_numIfEEEvi21rocsparse_index_base_PKT2_PKiPiS4_,"axG",@progbits,_ZN9rocsparseL19nnz_compress_kernelILi1024ELi16ELi64E21rocsparse_complex_numIfEEEvi21rocsparse_index_base_PKT2_PKiPiS4_,comdat
	.globl	_ZN9rocsparseL19nnz_compress_kernelILi1024ELi16ELi64E21rocsparse_complex_numIfEEEvi21rocsparse_index_base_PKT2_PKiPiS4_ ; -- Begin function _ZN9rocsparseL19nnz_compress_kernelILi1024ELi16ELi64E21rocsparse_complex_numIfEEEvi21rocsparse_index_base_PKT2_PKiPiS4_
	.p2align	8
	.type	_ZN9rocsparseL19nnz_compress_kernelILi1024ELi16ELi64E21rocsparse_complex_numIfEEEvi21rocsparse_index_base_PKT2_PKiPiS4_,@function
_ZN9rocsparseL19nnz_compress_kernelILi1024ELi16ELi64E21rocsparse_complex_numIfEEEvi21rocsparse_index_base_PKT2_PKiPiS4_: ; @_ZN9rocsparseL19nnz_compress_kernelILi1024ELi16ELi64E21rocsparse_complex_numIfEEEvi21rocsparse_index_base_PKT2_PKiPiS4_
; %bb.0:
	s_load_dwordx2 s[8:9], s[4:5], 0x0
	v_lshrrev_b32_e32 v1, 6, v0
	s_mov_b32 s0, exec_lo
	v_lshl_or_b32 v1, s6, 4, v1
	s_waitcnt lgkmcnt(0)
	v_cmpx_gt_i32_e64 s8, v1
	s_cbranch_execz .LBB17_22
; %bb.1:
	s_load_dwordx4 s[0:3], s[4:5], 0x10
	v_ashrrev_i32_e32 v2, 31, v1
	v_and_b32_e32 v0, 63, v0
	s_mov_b32 s6, exec_lo
	v_lshlrev_b64 v[1:2], 2, v[1:2]
	v_subrev_nc_u32_e32 v0, s9, v0
	s_waitcnt lgkmcnt(0)
	v_add_co_u32 v3, vcc_lo, s0, v1
	v_add_co_ci_u32_e64 v4, null, s1, v2, vcc_lo
	global_load_dwordx2 v[3:4], v[3:4], off
	s_waitcnt vmcnt(0)
	v_subrev_nc_u32_e32 v8, s9, v4
	v_add_nc_u32_e32 v3, v3, v0
	v_mov_b32_e32 v0, 0
	v_cmpx_lt_i32_e64 v3, v8
	s_cbranch_execz .LBB17_21
; %bb.2:
	s_load_dwordx2 s[0:1], s[4:5], 0x8
	v_ashrrev_i32_e32 v4, 31, v3
	s_load_dword s4, s[4:5], 0x20
	s_mov_b32 s5, 0
	v_lshlrev_b64 v[4:5], 3, v[3:4]
	s_waitcnt lgkmcnt(0)
	v_add_co_u32 v0, vcc_lo, s0, v4
	v_add_co_ci_u32_e64 v5, null, s1, v5, vcc_lo
	v_add_co_u32 v4, vcc_lo, v0, 4
	v_add_co_ci_u32_e64 v5, null, 0, v5, vcc_lo
	v_mov_b32_e32 v0, 0
	s_branch .LBB17_5
.LBB17_3:                               ;   in Loop: Header=BB17_5 Depth=1
	s_or_b32 exec_lo, exec_lo, s0
.LBB17_4:                               ;   in Loop: Header=BB17_5 Depth=1
	s_or_b32 exec_lo, exec_lo, s1
	v_add_nc_u32_e32 v3, 64, v3
	v_add_co_u32 v4, s0, 0x200, v4
	v_add_co_ci_u32_e64 v5, null, 0, v5, s0
	v_cmp_ge_i32_e32 vcc_lo, v3, v8
	s_or_b32 s5, vcc_lo, s5
	s_andn2_b32 exec_lo, exec_lo, s5
	s_cbranch_execz .LBB17_20
.LBB17_5:                               ; =>This Inner Loop Header: Depth=1
	global_load_dwordx2 v[6:7], v[4:5], off offset:-4
                                        ; implicit-def: $vgpr10
	s_waitcnt vmcnt(0)
	v_cmp_gt_f32_e32 vcc_lo, 0, v6
	v_cndmask_b32_e64 v6, v6, -v6, vcc_lo
	v_cmp_gt_f32_e32 vcc_lo, 0, v7
	v_cndmask_b32_e64 v9, v7, -v7, vcc_lo
	v_cmp_ngt_f32_e64 s0, v6, v9
	s_and_saveexec_b32 s1, s0
	s_xor_b32 s7, exec_lo, s1
	s_cbranch_execz .LBB17_9
; %bb.6:                                ;   in Loop: Header=BB17_5 Depth=1
	v_mov_b32_e32 v10, 0
	s_mov_b32 s8, exec_lo
	v_cmpx_neq_f32_e32 0, v7
	s_cbranch_execz .LBB17_8
; %bb.7:                                ;   in Loop: Header=BB17_5 Depth=1
	v_div_scale_f32 v10, null, v9, v9, v6
	v_div_scale_f32 v13, vcc_lo, v6, v9, v6
	v_rcp_f32_e32 v11, v10
	v_fma_f32 v12, -v10, v11, 1.0
	v_fmac_f32_e32 v11, v12, v11
	v_mul_f32_e32 v12, v13, v11
	v_fma_f32 v14, -v10, v12, v13
	v_fmac_f32_e32 v12, v14, v11
	v_fma_f32 v10, -v10, v12, v13
	v_div_fmas_f32 v10, v10, v11, v12
	v_div_fixup_f32 v10, v10, v9, v6
	v_fma_f32 v10, v10, v10, 1.0
	v_mul_f32_e32 v11, 0x4f800000, v10
	v_cmp_gt_f32_e32 vcc_lo, 0xf800000, v10
	v_cndmask_b32_e32 v10, v10, v11, vcc_lo
	v_sqrt_f32_e32 v11, v10
	v_add_nc_u32_e32 v12, -1, v11
	v_add_nc_u32_e32 v13, 1, v11
	v_fma_f32 v14, -v12, v11, v10
	v_fma_f32 v15, -v13, v11, v10
	v_cmp_ge_f32_e64 s1, 0, v14
	v_cndmask_b32_e64 v11, v11, v12, s1
	v_cmp_lt_f32_e64 s1, 0, v15
	v_cndmask_b32_e64 v11, v11, v13, s1
	v_mul_f32_e32 v12, 0x37800000, v11
	v_cndmask_b32_e32 v11, v11, v12, vcc_lo
	v_cmp_class_f32_e64 vcc_lo, v10, 0x260
	v_cndmask_b32_e32 v10, v11, v10, vcc_lo
	v_mul_f32_e32 v10, v9, v10
.LBB17_8:                               ;   in Loop: Header=BB17_5 Depth=1
	s_or_b32 exec_lo, exec_lo, s8
.LBB17_9:                               ;   in Loop: Header=BB17_5 Depth=1
	s_andn2_saveexec_b32 s7, s7
	s_cbranch_execz .LBB17_11
; %bb.10:                               ;   in Loop: Header=BB17_5 Depth=1
	v_div_scale_f32 v10, null, v6, v6, v9
	v_div_scale_f32 v13, vcc_lo, v9, v6, v9
	v_rcp_f32_e32 v11, v10
	v_fma_f32 v12, -v10, v11, 1.0
	v_fmac_f32_e32 v11, v12, v11
	v_mul_f32_e32 v12, v13, v11
	v_fma_f32 v14, -v10, v12, v13
	v_fmac_f32_e32 v12, v14, v11
	v_fma_f32 v10, -v10, v12, v13
	v_div_fmas_f32 v10, v10, v11, v12
	v_div_fixup_f32 v10, v10, v6, v9
	v_fma_f32 v10, v10, v10, 1.0
	v_mul_f32_e32 v11, 0x4f800000, v10
	v_cmp_gt_f32_e32 vcc_lo, 0xf800000, v10
	v_cndmask_b32_e32 v10, v10, v11, vcc_lo
	v_sqrt_f32_e32 v11, v10
	v_add_nc_u32_e32 v12, -1, v11
	v_add_nc_u32_e32 v13, 1, v11
	v_fma_f32 v14, -v12, v11, v10
	v_fma_f32 v15, -v13, v11, v10
	v_cmp_ge_f32_e64 s1, 0, v14
	v_cndmask_b32_e64 v11, v11, v12, s1
	v_cmp_lt_f32_e64 s1, 0, v15
	v_cndmask_b32_e64 v11, v11, v13, s1
	v_mul_f32_e32 v12, 0x37800000, v11
	v_cndmask_b32_e32 v11, v11, v12, vcc_lo
	v_cmp_class_f32_e64 vcc_lo, v10, 0x260
	v_cndmask_b32_e32 v10, v11, v10, vcc_lo
	v_mul_f32_e32 v10, v6, v10
.LBB17_11:                              ;   in Loop: Header=BB17_5 Depth=1
	s_or_b32 exec_lo, exec_lo, s7
	s_mov_b32 s1, exec_lo
	v_cmpx_lt_f32_e32 s4, v10
	s_cbranch_execz .LBB17_4
; %bb.12:                               ;   in Loop: Header=BB17_5 Depth=1
                                        ; implicit-def: $vgpr10
	s_and_saveexec_b32 s7, s0
	s_xor_b32 s7, exec_lo, s7
	s_cbranch_execz .LBB17_16
; %bb.13:                               ;   in Loop: Header=BB17_5 Depth=1
	v_mov_b32_e32 v10, 0
	s_mov_b32 s8, exec_lo
	v_cmpx_neq_f32_e32 0, v7
	s_cbranch_execz .LBB17_15
; %bb.14:                               ;   in Loop: Header=BB17_5 Depth=1
	v_div_scale_f32 v7, null, v9, v9, v6
	v_div_scale_f32 v12, vcc_lo, v6, v9, v6
	v_rcp_f32_e32 v10, v7
	v_fma_f32 v11, -v7, v10, 1.0
	v_fmac_f32_e32 v10, v11, v10
	v_mul_f32_e32 v11, v12, v10
	v_fma_f32 v13, -v7, v11, v12
	v_fmac_f32_e32 v11, v13, v10
	v_fma_f32 v7, -v7, v11, v12
	v_div_fmas_f32 v7, v7, v10, v11
	v_div_fixup_f32 v6, v7, v9, v6
	v_fma_f32 v6, v6, v6, 1.0
	v_mul_f32_e32 v7, 0x4f800000, v6
	v_cmp_gt_f32_e32 vcc_lo, 0xf800000, v6
	v_cndmask_b32_e32 v6, v6, v7, vcc_lo
	v_sqrt_f32_e32 v7, v6
	v_add_nc_u32_e32 v10, -1, v7
	v_add_nc_u32_e32 v11, 1, v7
	v_fma_f32 v12, -v10, v7, v6
	v_fma_f32 v13, -v11, v7, v6
	v_cmp_ge_f32_e64 s0, 0, v12
	v_cndmask_b32_e64 v7, v7, v10, s0
	v_cmp_lt_f32_e64 s0, 0, v13
	v_cndmask_b32_e64 v7, v7, v11, s0
	v_mul_f32_e32 v10, 0x37800000, v7
	v_cndmask_b32_e32 v7, v7, v10, vcc_lo
	v_cmp_class_f32_e64 vcc_lo, v6, 0x260
	v_cndmask_b32_e32 v6, v7, v6, vcc_lo
	v_mul_f32_e32 v10, v9, v6
.LBB17_15:                              ;   in Loop: Header=BB17_5 Depth=1
	s_or_b32 exec_lo, exec_lo, s8
                                        ; implicit-def: $vgpr6
                                        ; implicit-def: $vgpr9
.LBB17_16:                              ;   in Loop: Header=BB17_5 Depth=1
	s_andn2_saveexec_b32 s7, s7
	s_cbranch_execz .LBB17_18
; %bb.17:                               ;   in Loop: Header=BB17_5 Depth=1
	v_div_scale_f32 v7, null, v6, v6, v9
	v_div_scale_f32 v12, vcc_lo, v9, v6, v9
	v_rcp_f32_e32 v10, v7
	v_fma_f32 v11, -v7, v10, 1.0
	v_fmac_f32_e32 v10, v11, v10
	v_mul_f32_e32 v11, v12, v10
	v_fma_f32 v13, -v7, v11, v12
	v_fmac_f32_e32 v11, v13, v10
	v_fma_f32 v7, -v7, v11, v12
	v_div_fmas_f32 v7, v7, v10, v11
	v_div_fixup_f32 v7, v7, v6, v9
	v_fma_f32 v7, v7, v7, 1.0
	v_mul_f32_e32 v9, 0x4f800000, v7
	v_cmp_gt_f32_e32 vcc_lo, 0xf800000, v7
	v_cndmask_b32_e32 v7, v7, v9, vcc_lo
	v_sqrt_f32_e32 v9, v7
	v_add_nc_u32_e32 v10, -1, v9
	v_add_nc_u32_e32 v11, 1, v9
	v_fma_f32 v12, -v10, v9, v7
	v_fma_f32 v13, -v11, v9, v7
	v_cmp_ge_f32_e64 s0, 0, v12
	v_cndmask_b32_e64 v9, v9, v10, s0
	v_cmp_lt_f32_e64 s0, 0, v13
	v_cndmask_b32_e64 v9, v9, v11, s0
	v_mul_f32_e32 v10, 0x37800000, v9
	v_cndmask_b32_e32 v9, v9, v10, vcc_lo
	v_cmp_class_f32_e64 vcc_lo, v7, 0x260
	v_cndmask_b32_e32 v7, v9, v7, vcc_lo
	v_mul_f32_e32 v10, v6, v7
.LBB17_18:                              ;   in Loop: Header=BB17_5 Depth=1
	s_or_b32 exec_lo, exec_lo, s7
	s_mov_b32 s0, exec_lo
	v_cmpx_lt_f32_e32 0x800000, v10
	s_cbranch_execz .LBB17_3
; %bb.19:                               ;   in Loop: Header=BB17_5 Depth=1
	v_add_nc_u32_e32 v0, 1, v0
	s_branch .LBB17_3
.LBB17_20:
	s_or_b32 exec_lo, exec_lo, s5
.LBB17_21:
	s_or_b32 exec_lo, exec_lo, s6
	v_mbcnt_lo_u32_b32 v3, -1, 0
	v_or_b32_e32 v4, 32, v3
	v_xor_b32_e32 v5, 16, v3
	v_cmp_gt_i32_e32 vcc_lo, 32, v4
	v_cndmask_b32_e32 v4, v3, v4, vcc_lo
	v_cmp_gt_i32_e32 vcc_lo, 32, v5
	v_lshlrev_b32_e32 v4, 2, v4
	v_cndmask_b32_e32 v5, v3, v5, vcc_lo
	ds_bpermute_b32 v4, v4, v0
	v_lshlrev_b32_e32 v5, 2, v5
	s_waitcnt lgkmcnt(0)
	v_add_nc_u32_e32 v0, v4, v0
	ds_bpermute_b32 v4, v5, v0
	v_xor_b32_e32 v5, 8, v3
	v_cmp_gt_i32_e32 vcc_lo, 32, v5
	v_cndmask_b32_e32 v5, v3, v5, vcc_lo
	v_lshlrev_b32_e32 v5, 2, v5
	s_waitcnt lgkmcnt(0)
	v_add_nc_u32_e32 v0, v4, v0
	ds_bpermute_b32 v4, v5, v0
	v_xor_b32_e32 v5, 4, v3
	v_cmp_gt_i32_e32 vcc_lo, 32, v5
	v_cndmask_b32_e32 v5, v3, v5, vcc_lo
	;; [unrolled: 7-line block ×4, first 2 shown]
	v_lshlrev_b32_e32 v3, 2, v3
	s_waitcnt lgkmcnt(0)
	v_add_nc_u32_e32 v0, v4, v0
	ds_bpermute_b32 v3, v3, v0
	s_waitcnt lgkmcnt(0)
	v_add_nc_u32_e32 v0, v3, v0
	v_mov_b32_e32 v3, 0
	ds_bpermute_b32 v3, v3, v0 offset:252
	v_add_co_u32 v0, vcc_lo, s2, v1
	v_add_co_ci_u32_e64 v1, null, s3, v2, vcc_lo
	s_waitcnt lgkmcnt(0)
	global_store_dword v[0:1], v3, off
.LBB17_22:
	s_endpgm
	.section	.rodata,"a",@progbits
	.p2align	6, 0x0
	.amdhsa_kernel _ZN9rocsparseL19nnz_compress_kernelILi1024ELi16ELi64E21rocsparse_complex_numIfEEEvi21rocsparse_index_base_PKT2_PKiPiS4_
		.amdhsa_group_segment_fixed_size 0
		.amdhsa_private_segment_fixed_size 0
		.amdhsa_kernarg_size 40
		.amdhsa_user_sgpr_count 6
		.amdhsa_user_sgpr_private_segment_buffer 1
		.amdhsa_user_sgpr_dispatch_ptr 0
		.amdhsa_user_sgpr_queue_ptr 0
		.amdhsa_user_sgpr_kernarg_segment_ptr 1
		.amdhsa_user_sgpr_dispatch_id 0
		.amdhsa_user_sgpr_flat_scratch_init 0
		.amdhsa_user_sgpr_private_segment_size 0
		.amdhsa_wavefront_size32 1
		.amdhsa_uses_dynamic_stack 0
		.amdhsa_system_sgpr_private_segment_wavefront_offset 0
		.amdhsa_system_sgpr_workgroup_id_x 1
		.amdhsa_system_sgpr_workgroup_id_y 0
		.amdhsa_system_sgpr_workgroup_id_z 0
		.amdhsa_system_sgpr_workgroup_info 0
		.amdhsa_system_vgpr_workitem_id 0
		.amdhsa_next_free_vgpr 16
		.amdhsa_next_free_sgpr 10
		.amdhsa_reserve_vcc 1
		.amdhsa_reserve_flat_scratch 0
		.amdhsa_float_round_mode_32 0
		.amdhsa_float_round_mode_16_64 0
		.amdhsa_float_denorm_mode_32 3
		.amdhsa_float_denorm_mode_16_64 3
		.amdhsa_dx10_clamp 1
		.amdhsa_ieee_mode 1
		.amdhsa_fp16_overflow 0
		.amdhsa_workgroup_processor_mode 1
		.amdhsa_memory_ordered 1
		.amdhsa_forward_progress 1
		.amdhsa_shared_vgpr_count 0
		.amdhsa_exception_fp_ieee_invalid_op 0
		.amdhsa_exception_fp_denorm_src 0
		.amdhsa_exception_fp_ieee_div_zero 0
		.amdhsa_exception_fp_ieee_overflow 0
		.amdhsa_exception_fp_ieee_underflow 0
		.amdhsa_exception_fp_ieee_inexact 0
		.amdhsa_exception_int_div_zero 0
	.end_amdhsa_kernel
	.section	.text._ZN9rocsparseL19nnz_compress_kernelILi1024ELi16ELi64E21rocsparse_complex_numIfEEEvi21rocsparse_index_base_PKT2_PKiPiS4_,"axG",@progbits,_ZN9rocsparseL19nnz_compress_kernelILi1024ELi16ELi64E21rocsparse_complex_numIfEEEvi21rocsparse_index_base_PKT2_PKiPiS4_,comdat
.Lfunc_end17:
	.size	_ZN9rocsparseL19nnz_compress_kernelILi1024ELi16ELi64E21rocsparse_complex_numIfEEEvi21rocsparse_index_base_PKT2_PKiPiS4_, .Lfunc_end17-_ZN9rocsparseL19nnz_compress_kernelILi1024ELi16ELi64E21rocsparse_complex_numIfEEEvi21rocsparse_index_base_PKT2_PKiPiS4_
                                        ; -- End function
	.set _ZN9rocsparseL19nnz_compress_kernelILi1024ELi16ELi64E21rocsparse_complex_numIfEEEvi21rocsparse_index_base_PKT2_PKiPiS4_.num_vgpr, 16
	.set _ZN9rocsparseL19nnz_compress_kernelILi1024ELi16ELi64E21rocsparse_complex_numIfEEEvi21rocsparse_index_base_PKT2_PKiPiS4_.num_agpr, 0
	.set _ZN9rocsparseL19nnz_compress_kernelILi1024ELi16ELi64E21rocsparse_complex_numIfEEEvi21rocsparse_index_base_PKT2_PKiPiS4_.numbered_sgpr, 10
	.set _ZN9rocsparseL19nnz_compress_kernelILi1024ELi16ELi64E21rocsparse_complex_numIfEEEvi21rocsparse_index_base_PKT2_PKiPiS4_.num_named_barrier, 0
	.set _ZN9rocsparseL19nnz_compress_kernelILi1024ELi16ELi64E21rocsparse_complex_numIfEEEvi21rocsparse_index_base_PKT2_PKiPiS4_.private_seg_size, 0
	.set _ZN9rocsparseL19nnz_compress_kernelILi1024ELi16ELi64E21rocsparse_complex_numIfEEEvi21rocsparse_index_base_PKT2_PKiPiS4_.uses_vcc, 1
	.set _ZN9rocsparseL19nnz_compress_kernelILi1024ELi16ELi64E21rocsparse_complex_numIfEEEvi21rocsparse_index_base_PKT2_PKiPiS4_.uses_flat_scratch, 0
	.set _ZN9rocsparseL19nnz_compress_kernelILi1024ELi16ELi64E21rocsparse_complex_numIfEEEvi21rocsparse_index_base_PKT2_PKiPiS4_.has_dyn_sized_stack, 0
	.set _ZN9rocsparseL19nnz_compress_kernelILi1024ELi16ELi64E21rocsparse_complex_numIfEEEvi21rocsparse_index_base_PKT2_PKiPiS4_.has_recursion, 0
	.set _ZN9rocsparseL19nnz_compress_kernelILi1024ELi16ELi64E21rocsparse_complex_numIfEEEvi21rocsparse_index_base_PKT2_PKiPiS4_.has_indirect_call, 0
	.section	.AMDGPU.csdata,"",@progbits
; Kernel info:
; codeLenInByte = 1440
; TotalNumSgprs: 12
; NumVgprs: 16
; ScratchSize: 0
; MemoryBound: 0
; FloatMode: 240
; IeeeMode: 1
; LDSByteSize: 0 bytes/workgroup (compile time only)
; SGPRBlocks: 0
; VGPRBlocks: 1
; NumSGPRsForWavesPerEU: 12
; NumVGPRsForWavesPerEU: 16
; Occupancy: 16
; WaveLimiterHint : 0
; COMPUTE_PGM_RSRC2:SCRATCH_EN: 0
; COMPUTE_PGM_RSRC2:USER_SGPR: 6
; COMPUTE_PGM_RSRC2:TRAP_HANDLER: 0
; COMPUTE_PGM_RSRC2:TGID_X_EN: 1
; COMPUTE_PGM_RSRC2:TGID_Y_EN: 0
; COMPUTE_PGM_RSRC2:TGID_Z_EN: 0
; COMPUTE_PGM_RSRC2:TIDIG_COMP_CNT: 0
	.section	.text._ZN9rocsparseL19nnz_compress_kernelILi1024ELi512ELi2E21rocsparse_complex_numIdEEEvi21rocsparse_index_base_PKT2_PKiPiS4_,"axG",@progbits,_ZN9rocsparseL19nnz_compress_kernelILi1024ELi512ELi2E21rocsparse_complex_numIdEEEvi21rocsparse_index_base_PKT2_PKiPiS4_,comdat
	.globl	_ZN9rocsparseL19nnz_compress_kernelILi1024ELi512ELi2E21rocsparse_complex_numIdEEEvi21rocsparse_index_base_PKT2_PKiPiS4_ ; -- Begin function _ZN9rocsparseL19nnz_compress_kernelILi1024ELi512ELi2E21rocsparse_complex_numIdEEEvi21rocsparse_index_base_PKT2_PKiPiS4_
	.p2align	8
	.type	_ZN9rocsparseL19nnz_compress_kernelILi1024ELi512ELi2E21rocsparse_complex_numIdEEEvi21rocsparse_index_base_PKT2_PKiPiS4_,@function
_ZN9rocsparseL19nnz_compress_kernelILi1024ELi512ELi2E21rocsparse_complex_numIdEEEvi21rocsparse_index_base_PKT2_PKiPiS4_: ; @_ZN9rocsparseL19nnz_compress_kernelILi1024ELi512ELi2E21rocsparse_complex_numIdEEEvi21rocsparse_index_base_PKT2_PKiPiS4_
; %bb.0:
	s_load_dwordx2 s[8:9], s[4:5], 0x0
	v_lshrrev_b32_e32 v1, 1, v0
	s_mov_b32 s0, exec_lo
	v_lshl_or_b32 v1, s6, 9, v1
	s_waitcnt lgkmcnt(0)
	v_cmpx_gt_i32_e64 s8, v1
	s_cbranch_execz .LBB18_22
; %bb.1:
	s_load_dwordx4 s[0:3], s[4:5], 0x10
	v_ashrrev_i32_e32 v2, 31, v1
	v_and_b32_e32 v0, 1, v0
	v_mov_b32_e32 v14, 0
	v_lshlrev_b64 v[4:5], 2, v[1:2]
	v_subrev_nc_u32_e32 v0, s9, v0
	s_waitcnt lgkmcnt(0)
	v_add_co_u32 v1, vcc_lo, s0, v4
	v_add_co_ci_u32_e64 v2, null, s1, v5, vcc_lo
	s_mov_b32 s1, exec_lo
	global_load_dwordx2 v[1:2], v[1:2], off
	s_waitcnt vmcnt(0)
	v_subrev_nc_u32_e32 v13, s9, v2
	v_add_nc_u32_e32 v6, v1, v0
	v_cmpx_lt_i32_e64 v6, v13
	s_cbranch_execz .LBB18_21
; %bb.2:
	s_load_dwordx2 s[6:7], s[4:5], 0x8
	v_ashrrev_i32_e32 v7, 31, v6
	s_load_dwordx2 s[4:5], s[4:5], 0x20
	v_mov_b32_e32 v14, 0
	v_lshlrev_b64 v[0:1], 4, v[6:7]
	s_waitcnt lgkmcnt(0)
	v_add_co_u32 v0, vcc_lo, s6, v0
	v_add_co_ci_u32_e64 v1, null, s7, v1, vcc_lo
	s_mov_b32 s6, 0
	v_add_co_u32 v7, vcc_lo, v0, 8
	v_add_co_ci_u32_e64 v8, null, 0, v1, vcc_lo
	s_branch .LBB18_5
.LBB18_3:                               ;   in Loop: Header=BB18_5 Depth=1
	s_or_b32 exec_lo, exec_lo, s0
.LBB18_4:                               ;   in Loop: Header=BB18_5 Depth=1
	s_or_b32 exec_lo, exec_lo, s7
	v_add_nc_u32_e32 v6, 2, v6
	v_add_co_u32 v7, s0, v7, 32
	v_add_co_ci_u32_e64 v8, null, 0, v8, s0
	v_cmp_ge_i32_e32 vcc_lo, v6, v13
	s_or_b32 s6, vcc_lo, s6
	s_andn2_b32 exec_lo, exec_lo, s6
	s_cbranch_execz .LBB18_20
.LBB18_5:                               ; =>This Inner Loop Header: Depth=1
	global_load_dwordx4 v[0:3], v[7:8], off offset:-8
                                        ; implicit-def: $vgpr11_vgpr12
	s_waitcnt vmcnt(0)
	v_cmp_gt_f64_e32 vcc_lo, 0, v[0:1]
	v_xor_b32_e32 v9, 0x80000000, v1
	v_xor_b32_e32 v10, 0x80000000, v3
	v_cndmask_b32_e32 v1, v1, v9, vcc_lo
	v_cmp_gt_f64_e32 vcc_lo, 0, v[2:3]
	v_mov_b32_e32 v9, v2
	v_cndmask_b32_e32 v10, v3, v10, vcc_lo
	v_cmp_ngt_f64_e64 s0, v[0:1], v[9:10]
	s_and_saveexec_b32 s7, s0
	s_xor_b32 s7, exec_lo, s7
	s_cbranch_execz .LBB18_9
; %bb.6:                                ;   in Loop: Header=BB18_5 Depth=1
	v_mov_b32_e32 v11, 0
	v_mov_b32_e32 v12, 0
	s_mov_b32 s8, exec_lo
	v_cmpx_neq_f64_e32 0, v[2:3]
	s_cbranch_execz .LBB18_8
; %bb.7:                                ;   in Loop: Header=BB18_5 Depth=1
	v_div_scale_f64 v[11:12], null, v[9:10], v[9:10], v[0:1]
	v_div_scale_f64 v[19:20], vcc_lo, v[0:1], v[9:10], v[0:1]
	v_rcp_f64_e32 v[15:16], v[11:12]
	v_fma_f64 v[17:18], -v[11:12], v[15:16], 1.0
	v_fma_f64 v[15:16], v[15:16], v[17:18], v[15:16]
	v_fma_f64 v[17:18], -v[11:12], v[15:16], 1.0
	v_fma_f64 v[15:16], v[15:16], v[17:18], v[15:16]
	v_mul_f64 v[17:18], v[19:20], v[15:16]
	v_fma_f64 v[11:12], -v[11:12], v[17:18], v[19:20]
	v_div_fmas_f64 v[11:12], v[11:12], v[15:16], v[17:18]
	v_div_fixup_f64 v[11:12], v[11:12], v[9:10], v[0:1]
	v_fma_f64 v[11:12], v[11:12], v[11:12], 1.0
	v_cmp_gt_f64_e32 vcc_lo, 0x10000000, v[11:12]
	v_cndmask_b32_e64 v15, 0, 0x100, vcc_lo
	v_ldexp_f64 v[11:12], v[11:12], v15
	v_rsq_f64_e32 v[15:16], v[11:12]
	v_mul_f64 v[17:18], v[11:12], v[15:16]
	v_mul_f64 v[15:16], v[15:16], 0.5
	v_fma_f64 v[19:20], -v[15:16], v[17:18], 0.5
	v_fma_f64 v[17:18], v[17:18], v[19:20], v[17:18]
	v_fma_f64 v[15:16], v[15:16], v[19:20], v[15:16]
	v_fma_f64 v[19:20], -v[17:18], v[17:18], v[11:12]
	v_fma_f64 v[17:18], v[19:20], v[15:16], v[17:18]
	v_fma_f64 v[19:20], -v[17:18], v[17:18], v[11:12]
	v_fma_f64 v[15:16], v[19:20], v[15:16], v[17:18]
	v_cndmask_b32_e64 v17, 0, 0xffffff80, vcc_lo
	v_cmp_class_f64_e64 vcc_lo, v[11:12], 0x260
	v_ldexp_f64 v[15:16], v[15:16], v17
	v_cndmask_b32_e32 v12, v16, v12, vcc_lo
	v_cndmask_b32_e32 v11, v15, v11, vcc_lo
	v_mul_f64 v[11:12], v[9:10], v[11:12]
.LBB18_8:                               ;   in Loop: Header=BB18_5 Depth=1
	s_or_b32 exec_lo, exec_lo, s8
.LBB18_9:                               ;   in Loop: Header=BB18_5 Depth=1
	s_andn2_saveexec_b32 s7, s7
	s_cbranch_execz .LBB18_11
; %bb.10:                               ;   in Loop: Header=BB18_5 Depth=1
	v_div_scale_f64 v[11:12], null, v[0:1], v[0:1], v[9:10]
	v_div_scale_f64 v[19:20], vcc_lo, v[9:10], v[0:1], v[9:10]
	v_rcp_f64_e32 v[15:16], v[11:12]
	v_fma_f64 v[17:18], -v[11:12], v[15:16], 1.0
	v_fma_f64 v[15:16], v[15:16], v[17:18], v[15:16]
	v_fma_f64 v[17:18], -v[11:12], v[15:16], 1.0
	v_fma_f64 v[15:16], v[15:16], v[17:18], v[15:16]
	v_mul_f64 v[17:18], v[19:20], v[15:16]
	v_fma_f64 v[11:12], -v[11:12], v[17:18], v[19:20]
	v_div_fmas_f64 v[11:12], v[11:12], v[15:16], v[17:18]
	v_div_fixup_f64 v[11:12], v[11:12], v[0:1], v[9:10]
	v_fma_f64 v[11:12], v[11:12], v[11:12], 1.0
	v_cmp_gt_f64_e32 vcc_lo, 0x10000000, v[11:12]
	v_cndmask_b32_e64 v15, 0, 0x100, vcc_lo
	v_ldexp_f64 v[11:12], v[11:12], v15
	v_rsq_f64_e32 v[15:16], v[11:12]
	v_mul_f64 v[17:18], v[11:12], v[15:16]
	v_mul_f64 v[15:16], v[15:16], 0.5
	v_fma_f64 v[19:20], -v[15:16], v[17:18], 0.5
	v_fma_f64 v[17:18], v[17:18], v[19:20], v[17:18]
	v_fma_f64 v[15:16], v[15:16], v[19:20], v[15:16]
	v_fma_f64 v[19:20], -v[17:18], v[17:18], v[11:12]
	v_fma_f64 v[17:18], v[19:20], v[15:16], v[17:18]
	v_fma_f64 v[19:20], -v[17:18], v[17:18], v[11:12]
	v_fma_f64 v[15:16], v[19:20], v[15:16], v[17:18]
	v_cndmask_b32_e64 v17, 0, 0xffffff80, vcc_lo
	v_cmp_class_f64_e64 vcc_lo, v[11:12], 0x260
	v_ldexp_f64 v[15:16], v[15:16], v17
	v_cndmask_b32_e32 v12, v16, v12, vcc_lo
	v_cndmask_b32_e32 v11, v15, v11, vcc_lo
	v_mul_f64 v[11:12], v[0:1], v[11:12]
.LBB18_11:                              ;   in Loop: Header=BB18_5 Depth=1
	s_or_b32 exec_lo, exec_lo, s7
	s_mov_b32 s7, exec_lo
	v_cmpx_lt_f64_e32 s[4:5], v[11:12]
	s_cbranch_execz .LBB18_4
; %bb.12:                               ;   in Loop: Header=BB18_5 Depth=1
                                        ; implicit-def: $vgpr11_vgpr12
	s_and_saveexec_b32 s8, s0
	s_xor_b32 s0, exec_lo, s8
	s_cbranch_execz .LBB18_16
; %bb.13:                               ;   in Loop: Header=BB18_5 Depth=1
	v_mov_b32_e32 v11, 0
	v_mov_b32_e32 v12, 0
	s_mov_b32 s8, exec_lo
	v_cmpx_neq_f64_e32 0, v[2:3]
	s_cbranch_execz .LBB18_15
; %bb.14:                               ;   in Loop: Header=BB18_5 Depth=1
	v_div_scale_f64 v[2:3], null, v[9:10], v[9:10], v[0:1]
	v_div_scale_f64 v[17:18], vcc_lo, v[0:1], v[9:10], v[0:1]
	v_rcp_f64_e32 v[11:12], v[2:3]
	v_fma_f64 v[15:16], -v[2:3], v[11:12], 1.0
	v_fma_f64 v[11:12], v[11:12], v[15:16], v[11:12]
	v_fma_f64 v[15:16], -v[2:3], v[11:12], 1.0
	v_fma_f64 v[11:12], v[11:12], v[15:16], v[11:12]
	v_mul_f64 v[15:16], v[17:18], v[11:12]
	v_fma_f64 v[2:3], -v[2:3], v[15:16], v[17:18]
	v_div_fmas_f64 v[2:3], v[2:3], v[11:12], v[15:16]
	v_div_fixup_f64 v[0:1], v[2:3], v[9:10], v[0:1]
	v_fma_f64 v[0:1], v[0:1], v[0:1], 1.0
	v_cmp_gt_f64_e32 vcc_lo, 0x10000000, v[0:1]
	v_cndmask_b32_e64 v2, 0, 0x100, vcc_lo
	v_ldexp_f64 v[0:1], v[0:1], v2
	v_rsq_f64_e32 v[2:3], v[0:1]
	v_mul_f64 v[11:12], v[0:1], v[2:3]
	v_mul_f64 v[2:3], v[2:3], 0.5
	v_fma_f64 v[15:16], -v[2:3], v[11:12], 0.5
	v_fma_f64 v[11:12], v[11:12], v[15:16], v[11:12]
	v_fma_f64 v[2:3], v[2:3], v[15:16], v[2:3]
	v_fma_f64 v[15:16], -v[11:12], v[11:12], v[0:1]
	v_fma_f64 v[11:12], v[15:16], v[2:3], v[11:12]
	v_fma_f64 v[15:16], -v[11:12], v[11:12], v[0:1]
	v_fma_f64 v[2:3], v[15:16], v[2:3], v[11:12]
	v_cndmask_b32_e64 v11, 0, 0xffffff80, vcc_lo
	v_cmp_class_f64_e64 vcc_lo, v[0:1], 0x260
	v_ldexp_f64 v[2:3], v[2:3], v11
	v_cndmask_b32_e32 v1, v3, v1, vcc_lo
	v_cndmask_b32_e32 v0, v2, v0, vcc_lo
	v_mul_f64 v[11:12], v[9:10], v[0:1]
.LBB18_15:                              ;   in Loop: Header=BB18_5 Depth=1
	s_or_b32 exec_lo, exec_lo, s8
                                        ; implicit-def: $vgpr0_vgpr1
                                        ; implicit-def: $vgpr9_vgpr10
.LBB18_16:                              ;   in Loop: Header=BB18_5 Depth=1
	s_andn2_saveexec_b32 s0, s0
	s_cbranch_execz .LBB18_18
; %bb.17:                               ;   in Loop: Header=BB18_5 Depth=1
	v_div_scale_f64 v[2:3], null, v[0:1], v[0:1], v[9:10]
	v_div_scale_f64 v[17:18], vcc_lo, v[9:10], v[0:1], v[9:10]
	v_rcp_f64_e32 v[11:12], v[2:3]
	v_fma_f64 v[15:16], -v[2:3], v[11:12], 1.0
	v_fma_f64 v[11:12], v[11:12], v[15:16], v[11:12]
	v_fma_f64 v[15:16], -v[2:3], v[11:12], 1.0
	v_fma_f64 v[11:12], v[11:12], v[15:16], v[11:12]
	v_mul_f64 v[15:16], v[17:18], v[11:12]
	v_fma_f64 v[2:3], -v[2:3], v[15:16], v[17:18]
	v_div_fmas_f64 v[2:3], v[2:3], v[11:12], v[15:16]
	v_div_fixup_f64 v[2:3], v[2:3], v[0:1], v[9:10]
	v_fma_f64 v[2:3], v[2:3], v[2:3], 1.0
	v_cmp_gt_f64_e32 vcc_lo, 0x10000000, v[2:3]
	v_cndmask_b32_e64 v9, 0, 0x100, vcc_lo
	v_ldexp_f64 v[2:3], v[2:3], v9
	v_rsq_f64_e32 v[9:10], v[2:3]
	v_mul_f64 v[11:12], v[2:3], v[9:10]
	v_mul_f64 v[9:10], v[9:10], 0.5
	v_fma_f64 v[15:16], -v[9:10], v[11:12], 0.5
	v_fma_f64 v[11:12], v[11:12], v[15:16], v[11:12]
	v_fma_f64 v[9:10], v[9:10], v[15:16], v[9:10]
	v_fma_f64 v[15:16], -v[11:12], v[11:12], v[2:3]
	v_fma_f64 v[11:12], v[15:16], v[9:10], v[11:12]
	v_fma_f64 v[15:16], -v[11:12], v[11:12], v[2:3]
	v_fma_f64 v[9:10], v[15:16], v[9:10], v[11:12]
	v_cndmask_b32_e64 v11, 0, 0xffffff80, vcc_lo
	v_cmp_class_f64_e64 vcc_lo, v[2:3], 0x260
	v_ldexp_f64 v[9:10], v[9:10], v11
	v_cndmask_b32_e32 v3, v10, v3, vcc_lo
	v_cndmask_b32_e32 v2, v9, v2, vcc_lo
	v_mul_f64 v[11:12], v[0:1], v[2:3]
.LBB18_18:                              ;   in Loop: Header=BB18_5 Depth=1
	s_or_b32 exec_lo, exec_lo, s0
	s_mov_b32 s0, exec_lo
	v_cmpx_lt_f64_e32 0x38100000, v[11:12]
	s_cbranch_execz .LBB18_3
; %bb.19:                               ;   in Loop: Header=BB18_5 Depth=1
	v_add_nc_u32_e32 v14, 1, v14
	s_branch .LBB18_3
.LBB18_20:
	s_or_b32 exec_lo, exec_lo, s6
.LBB18_21:
	s_or_b32 exec_lo, exec_lo, s1
	v_mbcnt_lo_u32_b32 v0, -1, 0
	v_xor_b32_e32 v1, 1, v0
	v_cmp_gt_i32_e32 vcc_lo, 32, v1
	v_cndmask_b32_e32 v1, v0, v1, vcc_lo
	v_lshl_or_b32 v0, v0, 2, 4
	v_lshlrev_b32_e32 v1, 2, v1
	ds_bpermute_b32 v1, v1, v14
	s_waitcnt lgkmcnt(0)
	v_add_nc_u32_e32 v1, v1, v14
	ds_bpermute_b32 v2, v0, v1
	v_add_co_u32 v0, vcc_lo, s2, v4
	v_add_co_ci_u32_e64 v1, null, s3, v5, vcc_lo
	s_waitcnt lgkmcnt(0)
	global_store_dword v[0:1], v2, off
.LBB18_22:
	s_endpgm
	.section	.rodata,"a",@progbits
	.p2align	6, 0x0
	.amdhsa_kernel _ZN9rocsparseL19nnz_compress_kernelILi1024ELi512ELi2E21rocsparse_complex_numIdEEEvi21rocsparse_index_base_PKT2_PKiPiS4_
		.amdhsa_group_segment_fixed_size 0
		.amdhsa_private_segment_fixed_size 0
		.amdhsa_kernarg_size 48
		.amdhsa_user_sgpr_count 6
		.amdhsa_user_sgpr_private_segment_buffer 1
		.amdhsa_user_sgpr_dispatch_ptr 0
		.amdhsa_user_sgpr_queue_ptr 0
		.amdhsa_user_sgpr_kernarg_segment_ptr 1
		.amdhsa_user_sgpr_dispatch_id 0
		.amdhsa_user_sgpr_flat_scratch_init 0
		.amdhsa_user_sgpr_private_segment_size 0
		.amdhsa_wavefront_size32 1
		.amdhsa_uses_dynamic_stack 0
		.amdhsa_system_sgpr_private_segment_wavefront_offset 0
		.amdhsa_system_sgpr_workgroup_id_x 1
		.amdhsa_system_sgpr_workgroup_id_y 0
		.amdhsa_system_sgpr_workgroup_id_z 0
		.amdhsa_system_sgpr_workgroup_info 0
		.amdhsa_system_vgpr_workitem_id 0
		.amdhsa_next_free_vgpr 21
		.amdhsa_next_free_sgpr 10
		.amdhsa_reserve_vcc 1
		.amdhsa_reserve_flat_scratch 0
		.amdhsa_float_round_mode_32 0
		.amdhsa_float_round_mode_16_64 0
		.amdhsa_float_denorm_mode_32 3
		.amdhsa_float_denorm_mode_16_64 3
		.amdhsa_dx10_clamp 1
		.amdhsa_ieee_mode 1
		.amdhsa_fp16_overflow 0
		.amdhsa_workgroup_processor_mode 1
		.amdhsa_memory_ordered 1
		.amdhsa_forward_progress 1
		.amdhsa_shared_vgpr_count 0
		.amdhsa_exception_fp_ieee_invalid_op 0
		.amdhsa_exception_fp_denorm_src 0
		.amdhsa_exception_fp_ieee_div_zero 0
		.amdhsa_exception_fp_ieee_overflow 0
		.amdhsa_exception_fp_ieee_underflow 0
		.amdhsa_exception_fp_ieee_inexact 0
		.amdhsa_exception_int_div_zero 0
	.end_amdhsa_kernel
	.section	.text._ZN9rocsparseL19nnz_compress_kernelILi1024ELi512ELi2E21rocsparse_complex_numIdEEEvi21rocsparse_index_base_PKT2_PKiPiS4_,"axG",@progbits,_ZN9rocsparseL19nnz_compress_kernelILi1024ELi512ELi2E21rocsparse_complex_numIdEEEvi21rocsparse_index_base_PKT2_PKiPiS4_,comdat
.Lfunc_end18:
	.size	_ZN9rocsparseL19nnz_compress_kernelILi1024ELi512ELi2E21rocsparse_complex_numIdEEEvi21rocsparse_index_base_PKT2_PKiPiS4_, .Lfunc_end18-_ZN9rocsparseL19nnz_compress_kernelILi1024ELi512ELi2E21rocsparse_complex_numIdEEEvi21rocsparse_index_base_PKT2_PKiPiS4_
                                        ; -- End function
	.set _ZN9rocsparseL19nnz_compress_kernelILi1024ELi512ELi2E21rocsparse_complex_numIdEEEvi21rocsparse_index_base_PKT2_PKiPiS4_.num_vgpr, 21
	.set _ZN9rocsparseL19nnz_compress_kernelILi1024ELi512ELi2E21rocsparse_complex_numIdEEEvi21rocsparse_index_base_PKT2_PKiPiS4_.num_agpr, 0
	.set _ZN9rocsparseL19nnz_compress_kernelILi1024ELi512ELi2E21rocsparse_complex_numIdEEEvi21rocsparse_index_base_PKT2_PKiPiS4_.numbered_sgpr, 10
	.set _ZN9rocsparseL19nnz_compress_kernelILi1024ELi512ELi2E21rocsparse_complex_numIdEEEvi21rocsparse_index_base_PKT2_PKiPiS4_.num_named_barrier, 0
	.set _ZN9rocsparseL19nnz_compress_kernelILi1024ELi512ELi2E21rocsparse_complex_numIdEEEvi21rocsparse_index_base_PKT2_PKiPiS4_.private_seg_size, 0
	.set _ZN9rocsparseL19nnz_compress_kernelILi1024ELi512ELi2E21rocsparse_complex_numIdEEEvi21rocsparse_index_base_PKT2_PKiPiS4_.uses_vcc, 1
	.set _ZN9rocsparseL19nnz_compress_kernelILi1024ELi512ELi2E21rocsparse_complex_numIdEEEvi21rocsparse_index_base_PKT2_PKiPiS4_.uses_flat_scratch, 0
	.set _ZN9rocsparseL19nnz_compress_kernelILi1024ELi512ELi2E21rocsparse_complex_numIdEEEvi21rocsparse_index_base_PKT2_PKiPiS4_.has_dyn_sized_stack, 0
	.set _ZN9rocsparseL19nnz_compress_kernelILi1024ELi512ELi2E21rocsparse_complex_numIdEEEvi21rocsparse_index_base_PKT2_PKiPiS4_.has_recursion, 0
	.set _ZN9rocsparseL19nnz_compress_kernelILi1024ELi512ELi2E21rocsparse_complex_numIdEEEvi21rocsparse_index_base_PKT2_PKiPiS4_.has_indirect_call, 0
	.section	.AMDGPU.csdata,"",@progbits
; Kernel info:
; codeLenInByte = 1508
; TotalNumSgprs: 12
; NumVgprs: 21
; ScratchSize: 0
; MemoryBound: 0
; FloatMode: 240
; IeeeMode: 1
; LDSByteSize: 0 bytes/workgroup (compile time only)
; SGPRBlocks: 0
; VGPRBlocks: 2
; NumSGPRsForWavesPerEU: 12
; NumVGPRsForWavesPerEU: 21
; Occupancy: 16
; WaveLimiterHint : 0
; COMPUTE_PGM_RSRC2:SCRATCH_EN: 0
; COMPUTE_PGM_RSRC2:USER_SGPR: 6
; COMPUTE_PGM_RSRC2:TRAP_HANDLER: 0
; COMPUTE_PGM_RSRC2:TGID_X_EN: 1
; COMPUTE_PGM_RSRC2:TGID_Y_EN: 0
; COMPUTE_PGM_RSRC2:TGID_Z_EN: 0
; COMPUTE_PGM_RSRC2:TIDIG_COMP_CNT: 0
	.section	.text._ZN9rocsparseL19nnz_compress_kernelILi1024ELi256ELi4E21rocsparse_complex_numIdEEEvi21rocsparse_index_base_PKT2_PKiPiS4_,"axG",@progbits,_ZN9rocsparseL19nnz_compress_kernelILi1024ELi256ELi4E21rocsparse_complex_numIdEEEvi21rocsparse_index_base_PKT2_PKiPiS4_,comdat
	.globl	_ZN9rocsparseL19nnz_compress_kernelILi1024ELi256ELi4E21rocsparse_complex_numIdEEEvi21rocsparse_index_base_PKT2_PKiPiS4_ ; -- Begin function _ZN9rocsparseL19nnz_compress_kernelILi1024ELi256ELi4E21rocsparse_complex_numIdEEEvi21rocsparse_index_base_PKT2_PKiPiS4_
	.p2align	8
	.type	_ZN9rocsparseL19nnz_compress_kernelILi1024ELi256ELi4E21rocsparse_complex_numIdEEEvi21rocsparse_index_base_PKT2_PKiPiS4_,@function
_ZN9rocsparseL19nnz_compress_kernelILi1024ELi256ELi4E21rocsparse_complex_numIdEEEvi21rocsparse_index_base_PKT2_PKiPiS4_: ; @_ZN9rocsparseL19nnz_compress_kernelILi1024ELi256ELi4E21rocsparse_complex_numIdEEEvi21rocsparse_index_base_PKT2_PKiPiS4_
; %bb.0:
	s_load_dwordx2 s[8:9], s[4:5], 0x0
	v_lshrrev_b32_e32 v1, 2, v0
	s_mov_b32 s0, exec_lo
	v_lshl_or_b32 v1, s6, 8, v1
	s_waitcnt lgkmcnt(0)
	v_cmpx_gt_i32_e64 s8, v1
	s_cbranch_execz .LBB19_22
; %bb.1:
	s_load_dwordx4 s[0:3], s[4:5], 0x10
	v_ashrrev_i32_e32 v2, 31, v1
	v_and_b32_e32 v0, 3, v0
	v_mov_b32_e32 v13, 0
	v_lshlrev_b64 v[4:5], 2, v[1:2]
	v_subrev_nc_u32_e32 v0, s9, v0
	s_waitcnt lgkmcnt(0)
	v_add_co_u32 v1, vcc_lo, s0, v4
	v_add_co_ci_u32_e64 v2, null, s1, v5, vcc_lo
	s_mov_b32 s1, exec_lo
	global_load_dwordx2 v[1:2], v[1:2], off
	s_waitcnt vmcnt(0)
	v_subrev_nc_u32_e32 v14, s9, v2
	v_add_nc_u32_e32 v6, v1, v0
	v_cmpx_lt_i32_e64 v6, v14
	s_cbranch_execz .LBB19_21
; %bb.2:
	s_load_dwordx2 s[6:7], s[4:5], 0x8
	v_ashrrev_i32_e32 v7, 31, v6
	s_load_dwordx2 s[4:5], s[4:5], 0x20
	v_mov_b32_e32 v13, 0
	v_lshlrev_b64 v[0:1], 4, v[6:7]
	s_waitcnt lgkmcnt(0)
	v_add_co_u32 v0, vcc_lo, s6, v0
	v_add_co_ci_u32_e64 v1, null, s7, v1, vcc_lo
	s_mov_b32 s6, 0
	v_add_co_u32 v7, vcc_lo, v0, 8
	v_add_co_ci_u32_e64 v8, null, 0, v1, vcc_lo
	s_branch .LBB19_5
.LBB19_3:                               ;   in Loop: Header=BB19_5 Depth=1
	s_or_b32 exec_lo, exec_lo, s0
.LBB19_4:                               ;   in Loop: Header=BB19_5 Depth=1
	s_or_b32 exec_lo, exec_lo, s7
	v_add_nc_u32_e32 v6, 4, v6
	v_add_co_u32 v7, s0, v7, 64
	v_add_co_ci_u32_e64 v8, null, 0, v8, s0
	v_cmp_ge_i32_e32 vcc_lo, v6, v14
	s_or_b32 s6, vcc_lo, s6
	s_andn2_b32 exec_lo, exec_lo, s6
	s_cbranch_execz .LBB19_20
.LBB19_5:                               ; =>This Inner Loop Header: Depth=1
	global_load_dwordx4 v[0:3], v[7:8], off offset:-8
                                        ; implicit-def: $vgpr11_vgpr12
	s_waitcnt vmcnt(0)
	v_cmp_gt_f64_e32 vcc_lo, 0, v[0:1]
	v_xor_b32_e32 v9, 0x80000000, v1
	v_xor_b32_e32 v10, 0x80000000, v3
	v_cndmask_b32_e32 v1, v1, v9, vcc_lo
	v_cmp_gt_f64_e32 vcc_lo, 0, v[2:3]
	v_mov_b32_e32 v9, v2
	v_cndmask_b32_e32 v10, v3, v10, vcc_lo
	v_cmp_ngt_f64_e64 s0, v[0:1], v[9:10]
	s_and_saveexec_b32 s7, s0
	s_xor_b32 s7, exec_lo, s7
	s_cbranch_execz .LBB19_9
; %bb.6:                                ;   in Loop: Header=BB19_5 Depth=1
	v_mov_b32_e32 v11, 0
	v_mov_b32_e32 v12, 0
	s_mov_b32 s8, exec_lo
	v_cmpx_neq_f64_e32 0, v[2:3]
	s_cbranch_execz .LBB19_8
; %bb.7:                                ;   in Loop: Header=BB19_5 Depth=1
	v_div_scale_f64 v[11:12], null, v[9:10], v[9:10], v[0:1]
	v_div_scale_f64 v[19:20], vcc_lo, v[0:1], v[9:10], v[0:1]
	v_rcp_f64_e32 v[15:16], v[11:12]
	v_fma_f64 v[17:18], -v[11:12], v[15:16], 1.0
	v_fma_f64 v[15:16], v[15:16], v[17:18], v[15:16]
	v_fma_f64 v[17:18], -v[11:12], v[15:16], 1.0
	v_fma_f64 v[15:16], v[15:16], v[17:18], v[15:16]
	v_mul_f64 v[17:18], v[19:20], v[15:16]
	v_fma_f64 v[11:12], -v[11:12], v[17:18], v[19:20]
	v_div_fmas_f64 v[11:12], v[11:12], v[15:16], v[17:18]
	v_div_fixup_f64 v[11:12], v[11:12], v[9:10], v[0:1]
	v_fma_f64 v[11:12], v[11:12], v[11:12], 1.0
	v_cmp_gt_f64_e32 vcc_lo, 0x10000000, v[11:12]
	v_cndmask_b32_e64 v15, 0, 0x100, vcc_lo
	v_ldexp_f64 v[11:12], v[11:12], v15
	v_rsq_f64_e32 v[15:16], v[11:12]
	v_mul_f64 v[17:18], v[11:12], v[15:16]
	v_mul_f64 v[15:16], v[15:16], 0.5
	v_fma_f64 v[19:20], -v[15:16], v[17:18], 0.5
	v_fma_f64 v[17:18], v[17:18], v[19:20], v[17:18]
	v_fma_f64 v[15:16], v[15:16], v[19:20], v[15:16]
	v_fma_f64 v[19:20], -v[17:18], v[17:18], v[11:12]
	v_fma_f64 v[17:18], v[19:20], v[15:16], v[17:18]
	v_fma_f64 v[19:20], -v[17:18], v[17:18], v[11:12]
	v_fma_f64 v[15:16], v[19:20], v[15:16], v[17:18]
	v_cndmask_b32_e64 v17, 0, 0xffffff80, vcc_lo
	v_cmp_class_f64_e64 vcc_lo, v[11:12], 0x260
	v_ldexp_f64 v[15:16], v[15:16], v17
	v_cndmask_b32_e32 v12, v16, v12, vcc_lo
	v_cndmask_b32_e32 v11, v15, v11, vcc_lo
	v_mul_f64 v[11:12], v[9:10], v[11:12]
.LBB19_8:                               ;   in Loop: Header=BB19_5 Depth=1
	s_or_b32 exec_lo, exec_lo, s8
.LBB19_9:                               ;   in Loop: Header=BB19_5 Depth=1
	s_andn2_saveexec_b32 s7, s7
	s_cbranch_execz .LBB19_11
; %bb.10:                               ;   in Loop: Header=BB19_5 Depth=1
	v_div_scale_f64 v[11:12], null, v[0:1], v[0:1], v[9:10]
	v_div_scale_f64 v[19:20], vcc_lo, v[9:10], v[0:1], v[9:10]
	v_rcp_f64_e32 v[15:16], v[11:12]
	v_fma_f64 v[17:18], -v[11:12], v[15:16], 1.0
	v_fma_f64 v[15:16], v[15:16], v[17:18], v[15:16]
	v_fma_f64 v[17:18], -v[11:12], v[15:16], 1.0
	v_fma_f64 v[15:16], v[15:16], v[17:18], v[15:16]
	v_mul_f64 v[17:18], v[19:20], v[15:16]
	v_fma_f64 v[11:12], -v[11:12], v[17:18], v[19:20]
	v_div_fmas_f64 v[11:12], v[11:12], v[15:16], v[17:18]
	v_div_fixup_f64 v[11:12], v[11:12], v[0:1], v[9:10]
	v_fma_f64 v[11:12], v[11:12], v[11:12], 1.0
	v_cmp_gt_f64_e32 vcc_lo, 0x10000000, v[11:12]
	v_cndmask_b32_e64 v15, 0, 0x100, vcc_lo
	v_ldexp_f64 v[11:12], v[11:12], v15
	v_rsq_f64_e32 v[15:16], v[11:12]
	v_mul_f64 v[17:18], v[11:12], v[15:16]
	v_mul_f64 v[15:16], v[15:16], 0.5
	v_fma_f64 v[19:20], -v[15:16], v[17:18], 0.5
	v_fma_f64 v[17:18], v[17:18], v[19:20], v[17:18]
	v_fma_f64 v[15:16], v[15:16], v[19:20], v[15:16]
	v_fma_f64 v[19:20], -v[17:18], v[17:18], v[11:12]
	v_fma_f64 v[17:18], v[19:20], v[15:16], v[17:18]
	v_fma_f64 v[19:20], -v[17:18], v[17:18], v[11:12]
	v_fma_f64 v[15:16], v[19:20], v[15:16], v[17:18]
	v_cndmask_b32_e64 v17, 0, 0xffffff80, vcc_lo
	v_cmp_class_f64_e64 vcc_lo, v[11:12], 0x260
	v_ldexp_f64 v[15:16], v[15:16], v17
	v_cndmask_b32_e32 v12, v16, v12, vcc_lo
	v_cndmask_b32_e32 v11, v15, v11, vcc_lo
	v_mul_f64 v[11:12], v[0:1], v[11:12]
.LBB19_11:                              ;   in Loop: Header=BB19_5 Depth=1
	s_or_b32 exec_lo, exec_lo, s7
	s_mov_b32 s7, exec_lo
	v_cmpx_lt_f64_e32 s[4:5], v[11:12]
	s_cbranch_execz .LBB19_4
; %bb.12:                               ;   in Loop: Header=BB19_5 Depth=1
                                        ; implicit-def: $vgpr11_vgpr12
	s_and_saveexec_b32 s8, s0
	s_xor_b32 s0, exec_lo, s8
	s_cbranch_execz .LBB19_16
; %bb.13:                               ;   in Loop: Header=BB19_5 Depth=1
	v_mov_b32_e32 v11, 0
	v_mov_b32_e32 v12, 0
	s_mov_b32 s8, exec_lo
	v_cmpx_neq_f64_e32 0, v[2:3]
	s_cbranch_execz .LBB19_15
; %bb.14:                               ;   in Loop: Header=BB19_5 Depth=1
	v_div_scale_f64 v[2:3], null, v[9:10], v[9:10], v[0:1]
	v_div_scale_f64 v[17:18], vcc_lo, v[0:1], v[9:10], v[0:1]
	v_rcp_f64_e32 v[11:12], v[2:3]
	v_fma_f64 v[15:16], -v[2:3], v[11:12], 1.0
	v_fma_f64 v[11:12], v[11:12], v[15:16], v[11:12]
	v_fma_f64 v[15:16], -v[2:3], v[11:12], 1.0
	v_fma_f64 v[11:12], v[11:12], v[15:16], v[11:12]
	v_mul_f64 v[15:16], v[17:18], v[11:12]
	v_fma_f64 v[2:3], -v[2:3], v[15:16], v[17:18]
	v_div_fmas_f64 v[2:3], v[2:3], v[11:12], v[15:16]
	v_div_fixup_f64 v[0:1], v[2:3], v[9:10], v[0:1]
	v_fma_f64 v[0:1], v[0:1], v[0:1], 1.0
	v_cmp_gt_f64_e32 vcc_lo, 0x10000000, v[0:1]
	v_cndmask_b32_e64 v2, 0, 0x100, vcc_lo
	v_ldexp_f64 v[0:1], v[0:1], v2
	v_rsq_f64_e32 v[2:3], v[0:1]
	v_mul_f64 v[11:12], v[0:1], v[2:3]
	v_mul_f64 v[2:3], v[2:3], 0.5
	v_fma_f64 v[15:16], -v[2:3], v[11:12], 0.5
	v_fma_f64 v[11:12], v[11:12], v[15:16], v[11:12]
	v_fma_f64 v[2:3], v[2:3], v[15:16], v[2:3]
	v_fma_f64 v[15:16], -v[11:12], v[11:12], v[0:1]
	v_fma_f64 v[11:12], v[15:16], v[2:3], v[11:12]
	v_fma_f64 v[15:16], -v[11:12], v[11:12], v[0:1]
	v_fma_f64 v[2:3], v[15:16], v[2:3], v[11:12]
	v_cndmask_b32_e64 v11, 0, 0xffffff80, vcc_lo
	v_cmp_class_f64_e64 vcc_lo, v[0:1], 0x260
	v_ldexp_f64 v[2:3], v[2:3], v11
	v_cndmask_b32_e32 v1, v3, v1, vcc_lo
	v_cndmask_b32_e32 v0, v2, v0, vcc_lo
	v_mul_f64 v[11:12], v[9:10], v[0:1]
.LBB19_15:                              ;   in Loop: Header=BB19_5 Depth=1
	s_or_b32 exec_lo, exec_lo, s8
                                        ; implicit-def: $vgpr0_vgpr1
                                        ; implicit-def: $vgpr9_vgpr10
.LBB19_16:                              ;   in Loop: Header=BB19_5 Depth=1
	s_andn2_saveexec_b32 s0, s0
	s_cbranch_execz .LBB19_18
; %bb.17:                               ;   in Loop: Header=BB19_5 Depth=1
	v_div_scale_f64 v[2:3], null, v[0:1], v[0:1], v[9:10]
	v_div_scale_f64 v[17:18], vcc_lo, v[9:10], v[0:1], v[9:10]
	v_rcp_f64_e32 v[11:12], v[2:3]
	v_fma_f64 v[15:16], -v[2:3], v[11:12], 1.0
	v_fma_f64 v[11:12], v[11:12], v[15:16], v[11:12]
	v_fma_f64 v[15:16], -v[2:3], v[11:12], 1.0
	v_fma_f64 v[11:12], v[11:12], v[15:16], v[11:12]
	v_mul_f64 v[15:16], v[17:18], v[11:12]
	v_fma_f64 v[2:3], -v[2:3], v[15:16], v[17:18]
	v_div_fmas_f64 v[2:3], v[2:3], v[11:12], v[15:16]
	v_div_fixup_f64 v[2:3], v[2:3], v[0:1], v[9:10]
	v_fma_f64 v[2:3], v[2:3], v[2:3], 1.0
	v_cmp_gt_f64_e32 vcc_lo, 0x10000000, v[2:3]
	v_cndmask_b32_e64 v9, 0, 0x100, vcc_lo
	v_ldexp_f64 v[2:3], v[2:3], v9
	v_rsq_f64_e32 v[9:10], v[2:3]
	v_mul_f64 v[11:12], v[2:3], v[9:10]
	v_mul_f64 v[9:10], v[9:10], 0.5
	v_fma_f64 v[15:16], -v[9:10], v[11:12], 0.5
	v_fma_f64 v[11:12], v[11:12], v[15:16], v[11:12]
	v_fma_f64 v[9:10], v[9:10], v[15:16], v[9:10]
	v_fma_f64 v[15:16], -v[11:12], v[11:12], v[2:3]
	v_fma_f64 v[11:12], v[15:16], v[9:10], v[11:12]
	v_fma_f64 v[15:16], -v[11:12], v[11:12], v[2:3]
	v_fma_f64 v[9:10], v[15:16], v[9:10], v[11:12]
	v_cndmask_b32_e64 v11, 0, 0xffffff80, vcc_lo
	v_cmp_class_f64_e64 vcc_lo, v[2:3], 0x260
	v_ldexp_f64 v[9:10], v[9:10], v11
	v_cndmask_b32_e32 v3, v10, v3, vcc_lo
	v_cndmask_b32_e32 v2, v9, v2, vcc_lo
	v_mul_f64 v[11:12], v[0:1], v[2:3]
.LBB19_18:                              ;   in Loop: Header=BB19_5 Depth=1
	s_or_b32 exec_lo, exec_lo, s0
	s_mov_b32 s0, exec_lo
	v_cmpx_lt_f64_e32 0x38100000, v[11:12]
	s_cbranch_execz .LBB19_3
; %bb.19:                               ;   in Loop: Header=BB19_5 Depth=1
	v_add_nc_u32_e32 v13, 1, v13
	s_branch .LBB19_3
.LBB19_20:
	s_or_b32 exec_lo, exec_lo, s6
.LBB19_21:
	s_or_b32 exec_lo, exec_lo, s1
	v_mbcnt_lo_u32_b32 v0, -1, 0
	v_xor_b32_e32 v1, 2, v0
	v_xor_b32_e32 v2, 1, v0
	v_cmp_gt_i32_e32 vcc_lo, 32, v1
	v_cndmask_b32_e32 v1, v0, v1, vcc_lo
	v_cmp_gt_i32_e32 vcc_lo, 32, v2
	v_lshlrev_b32_e32 v1, 2, v1
	v_cndmask_b32_e32 v2, v0, v2, vcc_lo
	v_lshl_or_b32 v0, v0, 2, 12
	ds_bpermute_b32 v1, v1, v13
	v_lshlrev_b32_e32 v2, 2, v2
	s_waitcnt lgkmcnt(0)
	v_add_nc_u32_e32 v1, v1, v13
	ds_bpermute_b32 v2, v2, v1
	s_waitcnt lgkmcnt(0)
	v_add_nc_u32_e32 v1, v2, v1
	ds_bpermute_b32 v2, v0, v1
	v_add_co_u32 v0, vcc_lo, s2, v4
	v_add_co_ci_u32_e64 v1, null, s3, v5, vcc_lo
	s_waitcnt lgkmcnt(0)
	global_store_dword v[0:1], v2, off
.LBB19_22:
	s_endpgm
	.section	.rodata,"a",@progbits
	.p2align	6, 0x0
	.amdhsa_kernel _ZN9rocsparseL19nnz_compress_kernelILi1024ELi256ELi4E21rocsparse_complex_numIdEEEvi21rocsparse_index_base_PKT2_PKiPiS4_
		.amdhsa_group_segment_fixed_size 0
		.amdhsa_private_segment_fixed_size 0
		.amdhsa_kernarg_size 48
		.amdhsa_user_sgpr_count 6
		.amdhsa_user_sgpr_private_segment_buffer 1
		.amdhsa_user_sgpr_dispatch_ptr 0
		.amdhsa_user_sgpr_queue_ptr 0
		.amdhsa_user_sgpr_kernarg_segment_ptr 1
		.amdhsa_user_sgpr_dispatch_id 0
		.amdhsa_user_sgpr_flat_scratch_init 0
		.amdhsa_user_sgpr_private_segment_size 0
		.amdhsa_wavefront_size32 1
		.amdhsa_uses_dynamic_stack 0
		.amdhsa_system_sgpr_private_segment_wavefront_offset 0
		.amdhsa_system_sgpr_workgroup_id_x 1
		.amdhsa_system_sgpr_workgroup_id_y 0
		.amdhsa_system_sgpr_workgroup_id_z 0
		.amdhsa_system_sgpr_workgroup_info 0
		.amdhsa_system_vgpr_workitem_id 0
		.amdhsa_next_free_vgpr 21
		.amdhsa_next_free_sgpr 10
		.amdhsa_reserve_vcc 1
		.amdhsa_reserve_flat_scratch 0
		.amdhsa_float_round_mode_32 0
		.amdhsa_float_round_mode_16_64 0
		.amdhsa_float_denorm_mode_32 3
		.amdhsa_float_denorm_mode_16_64 3
		.amdhsa_dx10_clamp 1
		.amdhsa_ieee_mode 1
		.amdhsa_fp16_overflow 0
		.amdhsa_workgroup_processor_mode 1
		.amdhsa_memory_ordered 1
		.amdhsa_forward_progress 1
		.amdhsa_shared_vgpr_count 0
		.amdhsa_exception_fp_ieee_invalid_op 0
		.amdhsa_exception_fp_denorm_src 0
		.amdhsa_exception_fp_ieee_div_zero 0
		.amdhsa_exception_fp_ieee_overflow 0
		.amdhsa_exception_fp_ieee_underflow 0
		.amdhsa_exception_fp_ieee_inexact 0
		.amdhsa_exception_int_div_zero 0
	.end_amdhsa_kernel
	.section	.text._ZN9rocsparseL19nnz_compress_kernelILi1024ELi256ELi4E21rocsparse_complex_numIdEEEvi21rocsparse_index_base_PKT2_PKiPiS4_,"axG",@progbits,_ZN9rocsparseL19nnz_compress_kernelILi1024ELi256ELi4E21rocsparse_complex_numIdEEEvi21rocsparse_index_base_PKT2_PKiPiS4_,comdat
.Lfunc_end19:
	.size	_ZN9rocsparseL19nnz_compress_kernelILi1024ELi256ELi4E21rocsparse_complex_numIdEEEvi21rocsparse_index_base_PKT2_PKiPiS4_, .Lfunc_end19-_ZN9rocsparseL19nnz_compress_kernelILi1024ELi256ELi4E21rocsparse_complex_numIdEEEvi21rocsparse_index_base_PKT2_PKiPiS4_
                                        ; -- End function
	.set _ZN9rocsparseL19nnz_compress_kernelILi1024ELi256ELi4E21rocsparse_complex_numIdEEEvi21rocsparse_index_base_PKT2_PKiPiS4_.num_vgpr, 21
	.set _ZN9rocsparseL19nnz_compress_kernelILi1024ELi256ELi4E21rocsparse_complex_numIdEEEvi21rocsparse_index_base_PKT2_PKiPiS4_.num_agpr, 0
	.set _ZN9rocsparseL19nnz_compress_kernelILi1024ELi256ELi4E21rocsparse_complex_numIdEEEvi21rocsparse_index_base_PKT2_PKiPiS4_.numbered_sgpr, 10
	.set _ZN9rocsparseL19nnz_compress_kernelILi1024ELi256ELi4E21rocsparse_complex_numIdEEEvi21rocsparse_index_base_PKT2_PKiPiS4_.num_named_barrier, 0
	.set _ZN9rocsparseL19nnz_compress_kernelILi1024ELi256ELi4E21rocsparse_complex_numIdEEEvi21rocsparse_index_base_PKT2_PKiPiS4_.private_seg_size, 0
	.set _ZN9rocsparseL19nnz_compress_kernelILi1024ELi256ELi4E21rocsparse_complex_numIdEEEvi21rocsparse_index_base_PKT2_PKiPiS4_.uses_vcc, 1
	.set _ZN9rocsparseL19nnz_compress_kernelILi1024ELi256ELi4E21rocsparse_complex_numIdEEEvi21rocsparse_index_base_PKT2_PKiPiS4_.uses_flat_scratch, 0
	.set _ZN9rocsparseL19nnz_compress_kernelILi1024ELi256ELi4E21rocsparse_complex_numIdEEEvi21rocsparse_index_base_PKT2_PKiPiS4_.has_dyn_sized_stack, 0
	.set _ZN9rocsparseL19nnz_compress_kernelILi1024ELi256ELi4E21rocsparse_complex_numIdEEEvi21rocsparse_index_base_PKT2_PKiPiS4_.has_recursion, 0
	.set _ZN9rocsparseL19nnz_compress_kernelILi1024ELi256ELi4E21rocsparse_complex_numIdEEEvi21rocsparse_index_base_PKT2_PKiPiS4_.has_indirect_call, 0
	.section	.AMDGPU.csdata,"",@progbits
; Kernel info:
; codeLenInByte = 1540
; TotalNumSgprs: 12
; NumVgprs: 21
; ScratchSize: 0
; MemoryBound: 0
; FloatMode: 240
; IeeeMode: 1
; LDSByteSize: 0 bytes/workgroup (compile time only)
; SGPRBlocks: 0
; VGPRBlocks: 2
; NumSGPRsForWavesPerEU: 12
; NumVGPRsForWavesPerEU: 21
; Occupancy: 16
; WaveLimiterHint : 0
; COMPUTE_PGM_RSRC2:SCRATCH_EN: 0
; COMPUTE_PGM_RSRC2:USER_SGPR: 6
; COMPUTE_PGM_RSRC2:TRAP_HANDLER: 0
; COMPUTE_PGM_RSRC2:TGID_X_EN: 1
; COMPUTE_PGM_RSRC2:TGID_Y_EN: 0
; COMPUTE_PGM_RSRC2:TGID_Z_EN: 0
; COMPUTE_PGM_RSRC2:TIDIG_COMP_CNT: 0
	.section	.text._ZN9rocsparseL19nnz_compress_kernelILi1024ELi128ELi8E21rocsparse_complex_numIdEEEvi21rocsparse_index_base_PKT2_PKiPiS4_,"axG",@progbits,_ZN9rocsparseL19nnz_compress_kernelILi1024ELi128ELi8E21rocsparse_complex_numIdEEEvi21rocsparse_index_base_PKT2_PKiPiS4_,comdat
	.globl	_ZN9rocsparseL19nnz_compress_kernelILi1024ELi128ELi8E21rocsparse_complex_numIdEEEvi21rocsparse_index_base_PKT2_PKiPiS4_ ; -- Begin function _ZN9rocsparseL19nnz_compress_kernelILi1024ELi128ELi8E21rocsparse_complex_numIdEEEvi21rocsparse_index_base_PKT2_PKiPiS4_
	.p2align	8
	.type	_ZN9rocsparseL19nnz_compress_kernelILi1024ELi128ELi8E21rocsparse_complex_numIdEEEvi21rocsparse_index_base_PKT2_PKiPiS4_,@function
_ZN9rocsparseL19nnz_compress_kernelILi1024ELi128ELi8E21rocsparse_complex_numIdEEEvi21rocsparse_index_base_PKT2_PKiPiS4_: ; @_ZN9rocsparseL19nnz_compress_kernelILi1024ELi128ELi8E21rocsparse_complex_numIdEEEvi21rocsparse_index_base_PKT2_PKiPiS4_
; %bb.0:
	s_load_dwordx2 s[8:9], s[4:5], 0x0
	v_lshrrev_b32_e32 v1, 3, v0
	s_mov_b32 s0, exec_lo
	v_lshl_or_b32 v1, s6, 7, v1
	s_waitcnt lgkmcnt(0)
	v_cmpx_gt_i32_e64 s8, v1
	s_cbranch_execz .LBB20_22
; %bb.1:
	s_load_dwordx4 s[0:3], s[4:5], 0x10
	v_ashrrev_i32_e32 v2, 31, v1
	v_and_b32_e32 v0, 7, v0
	v_mov_b32_e32 v13, 0
	v_lshlrev_b64 v[4:5], 2, v[1:2]
	v_subrev_nc_u32_e32 v0, s9, v0
	s_waitcnt lgkmcnt(0)
	v_add_co_u32 v1, vcc_lo, s0, v4
	v_add_co_ci_u32_e64 v2, null, s1, v5, vcc_lo
	s_mov_b32 s1, exec_lo
	global_load_dwordx2 v[1:2], v[1:2], off
	s_waitcnt vmcnt(0)
	v_subrev_nc_u32_e32 v14, s9, v2
	v_add_nc_u32_e32 v6, v1, v0
	v_cmpx_lt_i32_e64 v6, v14
	s_cbranch_execz .LBB20_21
; %bb.2:
	s_load_dwordx2 s[6:7], s[4:5], 0x8
	v_ashrrev_i32_e32 v7, 31, v6
	s_load_dwordx2 s[4:5], s[4:5], 0x20
	v_mov_b32_e32 v13, 0
	v_lshlrev_b64 v[0:1], 4, v[6:7]
	s_waitcnt lgkmcnt(0)
	v_add_co_u32 v0, vcc_lo, s6, v0
	v_add_co_ci_u32_e64 v1, null, s7, v1, vcc_lo
	s_mov_b32 s6, 0
	v_add_co_u32 v7, vcc_lo, v0, 8
	v_add_co_ci_u32_e64 v8, null, 0, v1, vcc_lo
	s_branch .LBB20_5
.LBB20_3:                               ;   in Loop: Header=BB20_5 Depth=1
	s_or_b32 exec_lo, exec_lo, s0
.LBB20_4:                               ;   in Loop: Header=BB20_5 Depth=1
	s_or_b32 exec_lo, exec_lo, s7
	v_add_nc_u32_e32 v6, 8, v6
	v_add_co_u32 v7, s0, 0x80, v7
	v_add_co_ci_u32_e64 v8, null, 0, v8, s0
	v_cmp_ge_i32_e32 vcc_lo, v6, v14
	s_or_b32 s6, vcc_lo, s6
	s_andn2_b32 exec_lo, exec_lo, s6
	s_cbranch_execz .LBB20_20
.LBB20_5:                               ; =>This Inner Loop Header: Depth=1
	global_load_dwordx4 v[0:3], v[7:8], off offset:-8
                                        ; implicit-def: $vgpr11_vgpr12
	s_waitcnt vmcnt(0)
	v_cmp_gt_f64_e32 vcc_lo, 0, v[0:1]
	v_xor_b32_e32 v9, 0x80000000, v1
	v_xor_b32_e32 v10, 0x80000000, v3
	v_cndmask_b32_e32 v1, v1, v9, vcc_lo
	v_cmp_gt_f64_e32 vcc_lo, 0, v[2:3]
	v_mov_b32_e32 v9, v2
	v_cndmask_b32_e32 v10, v3, v10, vcc_lo
	v_cmp_ngt_f64_e64 s0, v[0:1], v[9:10]
	s_and_saveexec_b32 s7, s0
	s_xor_b32 s7, exec_lo, s7
	s_cbranch_execz .LBB20_9
; %bb.6:                                ;   in Loop: Header=BB20_5 Depth=1
	v_mov_b32_e32 v11, 0
	v_mov_b32_e32 v12, 0
	s_mov_b32 s8, exec_lo
	v_cmpx_neq_f64_e32 0, v[2:3]
	s_cbranch_execz .LBB20_8
; %bb.7:                                ;   in Loop: Header=BB20_5 Depth=1
	v_div_scale_f64 v[11:12], null, v[9:10], v[9:10], v[0:1]
	v_div_scale_f64 v[19:20], vcc_lo, v[0:1], v[9:10], v[0:1]
	v_rcp_f64_e32 v[15:16], v[11:12]
	v_fma_f64 v[17:18], -v[11:12], v[15:16], 1.0
	v_fma_f64 v[15:16], v[15:16], v[17:18], v[15:16]
	v_fma_f64 v[17:18], -v[11:12], v[15:16], 1.0
	v_fma_f64 v[15:16], v[15:16], v[17:18], v[15:16]
	v_mul_f64 v[17:18], v[19:20], v[15:16]
	v_fma_f64 v[11:12], -v[11:12], v[17:18], v[19:20]
	v_div_fmas_f64 v[11:12], v[11:12], v[15:16], v[17:18]
	v_div_fixup_f64 v[11:12], v[11:12], v[9:10], v[0:1]
	v_fma_f64 v[11:12], v[11:12], v[11:12], 1.0
	v_cmp_gt_f64_e32 vcc_lo, 0x10000000, v[11:12]
	v_cndmask_b32_e64 v15, 0, 0x100, vcc_lo
	v_ldexp_f64 v[11:12], v[11:12], v15
	v_rsq_f64_e32 v[15:16], v[11:12]
	v_mul_f64 v[17:18], v[11:12], v[15:16]
	v_mul_f64 v[15:16], v[15:16], 0.5
	v_fma_f64 v[19:20], -v[15:16], v[17:18], 0.5
	v_fma_f64 v[17:18], v[17:18], v[19:20], v[17:18]
	v_fma_f64 v[15:16], v[15:16], v[19:20], v[15:16]
	v_fma_f64 v[19:20], -v[17:18], v[17:18], v[11:12]
	v_fma_f64 v[17:18], v[19:20], v[15:16], v[17:18]
	v_fma_f64 v[19:20], -v[17:18], v[17:18], v[11:12]
	v_fma_f64 v[15:16], v[19:20], v[15:16], v[17:18]
	v_cndmask_b32_e64 v17, 0, 0xffffff80, vcc_lo
	v_cmp_class_f64_e64 vcc_lo, v[11:12], 0x260
	v_ldexp_f64 v[15:16], v[15:16], v17
	v_cndmask_b32_e32 v12, v16, v12, vcc_lo
	v_cndmask_b32_e32 v11, v15, v11, vcc_lo
	v_mul_f64 v[11:12], v[9:10], v[11:12]
.LBB20_8:                               ;   in Loop: Header=BB20_5 Depth=1
	s_or_b32 exec_lo, exec_lo, s8
.LBB20_9:                               ;   in Loop: Header=BB20_5 Depth=1
	s_andn2_saveexec_b32 s7, s7
	s_cbranch_execz .LBB20_11
; %bb.10:                               ;   in Loop: Header=BB20_5 Depth=1
	v_div_scale_f64 v[11:12], null, v[0:1], v[0:1], v[9:10]
	v_div_scale_f64 v[19:20], vcc_lo, v[9:10], v[0:1], v[9:10]
	v_rcp_f64_e32 v[15:16], v[11:12]
	v_fma_f64 v[17:18], -v[11:12], v[15:16], 1.0
	v_fma_f64 v[15:16], v[15:16], v[17:18], v[15:16]
	v_fma_f64 v[17:18], -v[11:12], v[15:16], 1.0
	v_fma_f64 v[15:16], v[15:16], v[17:18], v[15:16]
	v_mul_f64 v[17:18], v[19:20], v[15:16]
	v_fma_f64 v[11:12], -v[11:12], v[17:18], v[19:20]
	v_div_fmas_f64 v[11:12], v[11:12], v[15:16], v[17:18]
	v_div_fixup_f64 v[11:12], v[11:12], v[0:1], v[9:10]
	v_fma_f64 v[11:12], v[11:12], v[11:12], 1.0
	v_cmp_gt_f64_e32 vcc_lo, 0x10000000, v[11:12]
	v_cndmask_b32_e64 v15, 0, 0x100, vcc_lo
	v_ldexp_f64 v[11:12], v[11:12], v15
	v_rsq_f64_e32 v[15:16], v[11:12]
	v_mul_f64 v[17:18], v[11:12], v[15:16]
	v_mul_f64 v[15:16], v[15:16], 0.5
	v_fma_f64 v[19:20], -v[15:16], v[17:18], 0.5
	v_fma_f64 v[17:18], v[17:18], v[19:20], v[17:18]
	v_fma_f64 v[15:16], v[15:16], v[19:20], v[15:16]
	v_fma_f64 v[19:20], -v[17:18], v[17:18], v[11:12]
	v_fma_f64 v[17:18], v[19:20], v[15:16], v[17:18]
	v_fma_f64 v[19:20], -v[17:18], v[17:18], v[11:12]
	v_fma_f64 v[15:16], v[19:20], v[15:16], v[17:18]
	v_cndmask_b32_e64 v17, 0, 0xffffff80, vcc_lo
	v_cmp_class_f64_e64 vcc_lo, v[11:12], 0x260
	v_ldexp_f64 v[15:16], v[15:16], v17
	v_cndmask_b32_e32 v12, v16, v12, vcc_lo
	v_cndmask_b32_e32 v11, v15, v11, vcc_lo
	v_mul_f64 v[11:12], v[0:1], v[11:12]
.LBB20_11:                              ;   in Loop: Header=BB20_5 Depth=1
	s_or_b32 exec_lo, exec_lo, s7
	s_mov_b32 s7, exec_lo
	v_cmpx_lt_f64_e32 s[4:5], v[11:12]
	s_cbranch_execz .LBB20_4
; %bb.12:                               ;   in Loop: Header=BB20_5 Depth=1
                                        ; implicit-def: $vgpr11_vgpr12
	s_and_saveexec_b32 s8, s0
	s_xor_b32 s0, exec_lo, s8
	s_cbranch_execz .LBB20_16
; %bb.13:                               ;   in Loop: Header=BB20_5 Depth=1
	v_mov_b32_e32 v11, 0
	v_mov_b32_e32 v12, 0
	s_mov_b32 s8, exec_lo
	v_cmpx_neq_f64_e32 0, v[2:3]
	s_cbranch_execz .LBB20_15
; %bb.14:                               ;   in Loop: Header=BB20_5 Depth=1
	v_div_scale_f64 v[2:3], null, v[9:10], v[9:10], v[0:1]
	v_div_scale_f64 v[17:18], vcc_lo, v[0:1], v[9:10], v[0:1]
	v_rcp_f64_e32 v[11:12], v[2:3]
	v_fma_f64 v[15:16], -v[2:3], v[11:12], 1.0
	v_fma_f64 v[11:12], v[11:12], v[15:16], v[11:12]
	v_fma_f64 v[15:16], -v[2:3], v[11:12], 1.0
	v_fma_f64 v[11:12], v[11:12], v[15:16], v[11:12]
	v_mul_f64 v[15:16], v[17:18], v[11:12]
	v_fma_f64 v[2:3], -v[2:3], v[15:16], v[17:18]
	v_div_fmas_f64 v[2:3], v[2:3], v[11:12], v[15:16]
	v_div_fixup_f64 v[0:1], v[2:3], v[9:10], v[0:1]
	v_fma_f64 v[0:1], v[0:1], v[0:1], 1.0
	v_cmp_gt_f64_e32 vcc_lo, 0x10000000, v[0:1]
	v_cndmask_b32_e64 v2, 0, 0x100, vcc_lo
	v_ldexp_f64 v[0:1], v[0:1], v2
	v_rsq_f64_e32 v[2:3], v[0:1]
	v_mul_f64 v[11:12], v[0:1], v[2:3]
	v_mul_f64 v[2:3], v[2:3], 0.5
	v_fma_f64 v[15:16], -v[2:3], v[11:12], 0.5
	v_fma_f64 v[11:12], v[11:12], v[15:16], v[11:12]
	v_fma_f64 v[2:3], v[2:3], v[15:16], v[2:3]
	v_fma_f64 v[15:16], -v[11:12], v[11:12], v[0:1]
	v_fma_f64 v[11:12], v[15:16], v[2:3], v[11:12]
	v_fma_f64 v[15:16], -v[11:12], v[11:12], v[0:1]
	v_fma_f64 v[2:3], v[15:16], v[2:3], v[11:12]
	v_cndmask_b32_e64 v11, 0, 0xffffff80, vcc_lo
	v_cmp_class_f64_e64 vcc_lo, v[0:1], 0x260
	v_ldexp_f64 v[2:3], v[2:3], v11
	v_cndmask_b32_e32 v1, v3, v1, vcc_lo
	v_cndmask_b32_e32 v0, v2, v0, vcc_lo
	v_mul_f64 v[11:12], v[9:10], v[0:1]
.LBB20_15:                              ;   in Loop: Header=BB20_5 Depth=1
	s_or_b32 exec_lo, exec_lo, s8
                                        ; implicit-def: $vgpr0_vgpr1
                                        ; implicit-def: $vgpr9_vgpr10
.LBB20_16:                              ;   in Loop: Header=BB20_5 Depth=1
	s_andn2_saveexec_b32 s0, s0
	s_cbranch_execz .LBB20_18
; %bb.17:                               ;   in Loop: Header=BB20_5 Depth=1
	v_div_scale_f64 v[2:3], null, v[0:1], v[0:1], v[9:10]
	v_div_scale_f64 v[17:18], vcc_lo, v[9:10], v[0:1], v[9:10]
	v_rcp_f64_e32 v[11:12], v[2:3]
	v_fma_f64 v[15:16], -v[2:3], v[11:12], 1.0
	v_fma_f64 v[11:12], v[11:12], v[15:16], v[11:12]
	v_fma_f64 v[15:16], -v[2:3], v[11:12], 1.0
	v_fma_f64 v[11:12], v[11:12], v[15:16], v[11:12]
	v_mul_f64 v[15:16], v[17:18], v[11:12]
	v_fma_f64 v[2:3], -v[2:3], v[15:16], v[17:18]
	v_div_fmas_f64 v[2:3], v[2:3], v[11:12], v[15:16]
	v_div_fixup_f64 v[2:3], v[2:3], v[0:1], v[9:10]
	v_fma_f64 v[2:3], v[2:3], v[2:3], 1.0
	v_cmp_gt_f64_e32 vcc_lo, 0x10000000, v[2:3]
	v_cndmask_b32_e64 v9, 0, 0x100, vcc_lo
	v_ldexp_f64 v[2:3], v[2:3], v9
	v_rsq_f64_e32 v[9:10], v[2:3]
	v_mul_f64 v[11:12], v[2:3], v[9:10]
	v_mul_f64 v[9:10], v[9:10], 0.5
	v_fma_f64 v[15:16], -v[9:10], v[11:12], 0.5
	v_fma_f64 v[11:12], v[11:12], v[15:16], v[11:12]
	v_fma_f64 v[9:10], v[9:10], v[15:16], v[9:10]
	v_fma_f64 v[15:16], -v[11:12], v[11:12], v[2:3]
	v_fma_f64 v[11:12], v[15:16], v[9:10], v[11:12]
	v_fma_f64 v[15:16], -v[11:12], v[11:12], v[2:3]
	v_fma_f64 v[9:10], v[15:16], v[9:10], v[11:12]
	v_cndmask_b32_e64 v11, 0, 0xffffff80, vcc_lo
	v_cmp_class_f64_e64 vcc_lo, v[2:3], 0x260
	v_ldexp_f64 v[9:10], v[9:10], v11
	v_cndmask_b32_e32 v3, v10, v3, vcc_lo
	v_cndmask_b32_e32 v2, v9, v2, vcc_lo
	v_mul_f64 v[11:12], v[0:1], v[2:3]
.LBB20_18:                              ;   in Loop: Header=BB20_5 Depth=1
	s_or_b32 exec_lo, exec_lo, s0
	s_mov_b32 s0, exec_lo
	v_cmpx_lt_f64_e32 0x38100000, v[11:12]
	s_cbranch_execz .LBB20_3
; %bb.19:                               ;   in Loop: Header=BB20_5 Depth=1
	v_add_nc_u32_e32 v13, 1, v13
	s_branch .LBB20_3
.LBB20_20:
	s_or_b32 exec_lo, exec_lo, s6
.LBB20_21:
	s_or_b32 exec_lo, exec_lo, s1
	v_mbcnt_lo_u32_b32 v0, -1, 0
	v_xor_b32_e32 v1, 4, v0
	v_xor_b32_e32 v2, 2, v0
	;; [unrolled: 1-line block ×3, first 2 shown]
	v_cmp_gt_i32_e32 vcc_lo, 32, v1
	v_cndmask_b32_e32 v1, v0, v1, vcc_lo
	v_cmp_gt_i32_e32 vcc_lo, 32, v2
	v_lshlrev_b32_e32 v1, 2, v1
	v_cndmask_b32_e32 v2, v0, v2, vcc_lo
	v_cmp_gt_i32_e32 vcc_lo, 32, v3
	ds_bpermute_b32 v1, v1, v13
	v_lshlrev_b32_e32 v2, 2, v2
	v_cndmask_b32_e32 v3, v0, v3, vcc_lo
	v_lshl_or_b32 v0, v0, 2, 28
	v_lshlrev_b32_e32 v3, 2, v3
	s_waitcnt lgkmcnt(0)
	v_add_nc_u32_e32 v1, v1, v13
	ds_bpermute_b32 v2, v2, v1
	s_waitcnt lgkmcnt(0)
	v_add_nc_u32_e32 v1, v2, v1
	ds_bpermute_b32 v2, v3, v1
	;; [unrolled: 3-line block ×3, first 2 shown]
	v_add_co_u32 v0, vcc_lo, s2, v4
	v_add_co_ci_u32_e64 v1, null, s3, v5, vcc_lo
	s_waitcnt lgkmcnt(0)
	global_store_dword v[0:1], v2, off
.LBB20_22:
	s_endpgm
	.section	.rodata,"a",@progbits
	.p2align	6, 0x0
	.amdhsa_kernel _ZN9rocsparseL19nnz_compress_kernelILi1024ELi128ELi8E21rocsparse_complex_numIdEEEvi21rocsparse_index_base_PKT2_PKiPiS4_
		.amdhsa_group_segment_fixed_size 0
		.amdhsa_private_segment_fixed_size 0
		.amdhsa_kernarg_size 48
		.amdhsa_user_sgpr_count 6
		.amdhsa_user_sgpr_private_segment_buffer 1
		.amdhsa_user_sgpr_dispatch_ptr 0
		.amdhsa_user_sgpr_queue_ptr 0
		.amdhsa_user_sgpr_kernarg_segment_ptr 1
		.amdhsa_user_sgpr_dispatch_id 0
		.amdhsa_user_sgpr_flat_scratch_init 0
		.amdhsa_user_sgpr_private_segment_size 0
		.amdhsa_wavefront_size32 1
		.amdhsa_uses_dynamic_stack 0
		.amdhsa_system_sgpr_private_segment_wavefront_offset 0
		.amdhsa_system_sgpr_workgroup_id_x 1
		.amdhsa_system_sgpr_workgroup_id_y 0
		.amdhsa_system_sgpr_workgroup_id_z 0
		.amdhsa_system_sgpr_workgroup_info 0
		.amdhsa_system_vgpr_workitem_id 0
		.amdhsa_next_free_vgpr 21
		.amdhsa_next_free_sgpr 10
		.amdhsa_reserve_vcc 1
		.amdhsa_reserve_flat_scratch 0
		.amdhsa_float_round_mode_32 0
		.amdhsa_float_round_mode_16_64 0
		.amdhsa_float_denorm_mode_32 3
		.amdhsa_float_denorm_mode_16_64 3
		.amdhsa_dx10_clamp 1
		.amdhsa_ieee_mode 1
		.amdhsa_fp16_overflow 0
		.amdhsa_workgroup_processor_mode 1
		.amdhsa_memory_ordered 1
		.amdhsa_forward_progress 1
		.amdhsa_shared_vgpr_count 0
		.amdhsa_exception_fp_ieee_invalid_op 0
		.amdhsa_exception_fp_denorm_src 0
		.amdhsa_exception_fp_ieee_div_zero 0
		.amdhsa_exception_fp_ieee_overflow 0
		.amdhsa_exception_fp_ieee_underflow 0
		.amdhsa_exception_fp_ieee_inexact 0
		.amdhsa_exception_int_div_zero 0
	.end_amdhsa_kernel
	.section	.text._ZN9rocsparseL19nnz_compress_kernelILi1024ELi128ELi8E21rocsparse_complex_numIdEEEvi21rocsparse_index_base_PKT2_PKiPiS4_,"axG",@progbits,_ZN9rocsparseL19nnz_compress_kernelILi1024ELi128ELi8E21rocsparse_complex_numIdEEEvi21rocsparse_index_base_PKT2_PKiPiS4_,comdat
.Lfunc_end20:
	.size	_ZN9rocsparseL19nnz_compress_kernelILi1024ELi128ELi8E21rocsparse_complex_numIdEEEvi21rocsparse_index_base_PKT2_PKiPiS4_, .Lfunc_end20-_ZN9rocsparseL19nnz_compress_kernelILi1024ELi128ELi8E21rocsparse_complex_numIdEEEvi21rocsparse_index_base_PKT2_PKiPiS4_
                                        ; -- End function
	.set _ZN9rocsparseL19nnz_compress_kernelILi1024ELi128ELi8E21rocsparse_complex_numIdEEEvi21rocsparse_index_base_PKT2_PKiPiS4_.num_vgpr, 21
	.set _ZN9rocsparseL19nnz_compress_kernelILi1024ELi128ELi8E21rocsparse_complex_numIdEEEvi21rocsparse_index_base_PKT2_PKiPiS4_.num_agpr, 0
	.set _ZN9rocsparseL19nnz_compress_kernelILi1024ELi128ELi8E21rocsparse_complex_numIdEEEvi21rocsparse_index_base_PKT2_PKiPiS4_.numbered_sgpr, 10
	.set _ZN9rocsparseL19nnz_compress_kernelILi1024ELi128ELi8E21rocsparse_complex_numIdEEEvi21rocsparse_index_base_PKT2_PKiPiS4_.num_named_barrier, 0
	.set _ZN9rocsparseL19nnz_compress_kernelILi1024ELi128ELi8E21rocsparse_complex_numIdEEEvi21rocsparse_index_base_PKT2_PKiPiS4_.private_seg_size, 0
	.set _ZN9rocsparseL19nnz_compress_kernelILi1024ELi128ELi8E21rocsparse_complex_numIdEEEvi21rocsparse_index_base_PKT2_PKiPiS4_.uses_vcc, 1
	.set _ZN9rocsparseL19nnz_compress_kernelILi1024ELi128ELi8E21rocsparse_complex_numIdEEEvi21rocsparse_index_base_PKT2_PKiPiS4_.uses_flat_scratch, 0
	.set _ZN9rocsparseL19nnz_compress_kernelILi1024ELi128ELi8E21rocsparse_complex_numIdEEEvi21rocsparse_index_base_PKT2_PKiPiS4_.has_dyn_sized_stack, 0
	.set _ZN9rocsparseL19nnz_compress_kernelILi1024ELi128ELi8E21rocsparse_complex_numIdEEEvi21rocsparse_index_base_PKT2_PKiPiS4_.has_recursion, 0
	.set _ZN9rocsparseL19nnz_compress_kernelILi1024ELi128ELi8E21rocsparse_complex_numIdEEEvi21rocsparse_index_base_PKT2_PKiPiS4_.has_indirect_call, 0
	.section	.AMDGPU.csdata,"",@progbits
; Kernel info:
; codeLenInByte = 1576
; TotalNumSgprs: 12
; NumVgprs: 21
; ScratchSize: 0
; MemoryBound: 0
; FloatMode: 240
; IeeeMode: 1
; LDSByteSize: 0 bytes/workgroup (compile time only)
; SGPRBlocks: 0
; VGPRBlocks: 2
; NumSGPRsForWavesPerEU: 12
; NumVGPRsForWavesPerEU: 21
; Occupancy: 16
; WaveLimiterHint : 0
; COMPUTE_PGM_RSRC2:SCRATCH_EN: 0
; COMPUTE_PGM_RSRC2:USER_SGPR: 6
; COMPUTE_PGM_RSRC2:TRAP_HANDLER: 0
; COMPUTE_PGM_RSRC2:TGID_X_EN: 1
; COMPUTE_PGM_RSRC2:TGID_Y_EN: 0
; COMPUTE_PGM_RSRC2:TGID_Z_EN: 0
; COMPUTE_PGM_RSRC2:TIDIG_COMP_CNT: 0
	.section	.text._ZN9rocsparseL19nnz_compress_kernelILi1024ELi64ELi16E21rocsparse_complex_numIdEEEvi21rocsparse_index_base_PKT2_PKiPiS4_,"axG",@progbits,_ZN9rocsparseL19nnz_compress_kernelILi1024ELi64ELi16E21rocsparse_complex_numIdEEEvi21rocsparse_index_base_PKT2_PKiPiS4_,comdat
	.globl	_ZN9rocsparseL19nnz_compress_kernelILi1024ELi64ELi16E21rocsparse_complex_numIdEEEvi21rocsparse_index_base_PKT2_PKiPiS4_ ; -- Begin function _ZN9rocsparseL19nnz_compress_kernelILi1024ELi64ELi16E21rocsparse_complex_numIdEEEvi21rocsparse_index_base_PKT2_PKiPiS4_
	.p2align	8
	.type	_ZN9rocsparseL19nnz_compress_kernelILi1024ELi64ELi16E21rocsparse_complex_numIdEEEvi21rocsparse_index_base_PKT2_PKiPiS4_,@function
_ZN9rocsparseL19nnz_compress_kernelILi1024ELi64ELi16E21rocsparse_complex_numIdEEEvi21rocsparse_index_base_PKT2_PKiPiS4_: ; @_ZN9rocsparseL19nnz_compress_kernelILi1024ELi64ELi16E21rocsparse_complex_numIdEEEvi21rocsparse_index_base_PKT2_PKiPiS4_
; %bb.0:
	s_load_dwordx2 s[8:9], s[4:5], 0x0
	v_lshrrev_b32_e32 v1, 4, v0
	s_mov_b32 s0, exec_lo
	v_lshl_or_b32 v1, s6, 6, v1
	s_waitcnt lgkmcnt(0)
	v_cmpx_gt_i32_e64 s8, v1
	s_cbranch_execz .LBB21_22
; %bb.1:
	s_load_dwordx4 s[0:3], s[4:5], 0x10
	v_ashrrev_i32_e32 v2, 31, v1
	v_and_b32_e32 v0, 15, v0
	v_mov_b32_e32 v13, 0
	v_lshlrev_b64 v[4:5], 2, v[1:2]
	v_subrev_nc_u32_e32 v0, s9, v0
	s_waitcnt lgkmcnt(0)
	v_add_co_u32 v1, vcc_lo, s0, v4
	v_add_co_ci_u32_e64 v2, null, s1, v5, vcc_lo
	s_mov_b32 s1, exec_lo
	global_load_dwordx2 v[1:2], v[1:2], off
	s_waitcnt vmcnt(0)
	v_subrev_nc_u32_e32 v14, s9, v2
	v_add_nc_u32_e32 v6, v1, v0
	v_cmpx_lt_i32_e64 v6, v14
	s_cbranch_execz .LBB21_21
; %bb.2:
	s_load_dwordx2 s[6:7], s[4:5], 0x8
	v_ashrrev_i32_e32 v7, 31, v6
	s_load_dwordx2 s[4:5], s[4:5], 0x20
	v_mov_b32_e32 v13, 0
	v_lshlrev_b64 v[0:1], 4, v[6:7]
	s_waitcnt lgkmcnt(0)
	v_add_co_u32 v0, vcc_lo, s6, v0
	v_add_co_ci_u32_e64 v1, null, s7, v1, vcc_lo
	s_mov_b32 s6, 0
	v_add_co_u32 v7, vcc_lo, v0, 8
	v_add_co_ci_u32_e64 v8, null, 0, v1, vcc_lo
	s_branch .LBB21_5
.LBB21_3:                               ;   in Loop: Header=BB21_5 Depth=1
	s_or_b32 exec_lo, exec_lo, s0
.LBB21_4:                               ;   in Loop: Header=BB21_5 Depth=1
	s_or_b32 exec_lo, exec_lo, s7
	v_add_nc_u32_e32 v6, 16, v6
	v_add_co_u32 v7, s0, 0x100, v7
	v_add_co_ci_u32_e64 v8, null, 0, v8, s0
	v_cmp_ge_i32_e32 vcc_lo, v6, v14
	s_or_b32 s6, vcc_lo, s6
	s_andn2_b32 exec_lo, exec_lo, s6
	s_cbranch_execz .LBB21_20
.LBB21_5:                               ; =>This Inner Loop Header: Depth=1
	global_load_dwordx4 v[0:3], v[7:8], off offset:-8
                                        ; implicit-def: $vgpr11_vgpr12
	s_waitcnt vmcnt(0)
	v_cmp_gt_f64_e32 vcc_lo, 0, v[0:1]
	v_xor_b32_e32 v9, 0x80000000, v1
	v_xor_b32_e32 v10, 0x80000000, v3
	v_cndmask_b32_e32 v1, v1, v9, vcc_lo
	v_cmp_gt_f64_e32 vcc_lo, 0, v[2:3]
	v_mov_b32_e32 v9, v2
	v_cndmask_b32_e32 v10, v3, v10, vcc_lo
	v_cmp_ngt_f64_e64 s0, v[0:1], v[9:10]
	s_and_saveexec_b32 s7, s0
	s_xor_b32 s7, exec_lo, s7
	s_cbranch_execz .LBB21_9
; %bb.6:                                ;   in Loop: Header=BB21_5 Depth=1
	v_mov_b32_e32 v11, 0
	v_mov_b32_e32 v12, 0
	s_mov_b32 s8, exec_lo
	v_cmpx_neq_f64_e32 0, v[2:3]
	s_cbranch_execz .LBB21_8
; %bb.7:                                ;   in Loop: Header=BB21_5 Depth=1
	v_div_scale_f64 v[11:12], null, v[9:10], v[9:10], v[0:1]
	v_div_scale_f64 v[19:20], vcc_lo, v[0:1], v[9:10], v[0:1]
	v_rcp_f64_e32 v[15:16], v[11:12]
	v_fma_f64 v[17:18], -v[11:12], v[15:16], 1.0
	v_fma_f64 v[15:16], v[15:16], v[17:18], v[15:16]
	v_fma_f64 v[17:18], -v[11:12], v[15:16], 1.0
	v_fma_f64 v[15:16], v[15:16], v[17:18], v[15:16]
	v_mul_f64 v[17:18], v[19:20], v[15:16]
	v_fma_f64 v[11:12], -v[11:12], v[17:18], v[19:20]
	v_div_fmas_f64 v[11:12], v[11:12], v[15:16], v[17:18]
	v_div_fixup_f64 v[11:12], v[11:12], v[9:10], v[0:1]
	v_fma_f64 v[11:12], v[11:12], v[11:12], 1.0
	v_cmp_gt_f64_e32 vcc_lo, 0x10000000, v[11:12]
	v_cndmask_b32_e64 v15, 0, 0x100, vcc_lo
	v_ldexp_f64 v[11:12], v[11:12], v15
	v_rsq_f64_e32 v[15:16], v[11:12]
	v_mul_f64 v[17:18], v[11:12], v[15:16]
	v_mul_f64 v[15:16], v[15:16], 0.5
	v_fma_f64 v[19:20], -v[15:16], v[17:18], 0.5
	v_fma_f64 v[17:18], v[17:18], v[19:20], v[17:18]
	v_fma_f64 v[15:16], v[15:16], v[19:20], v[15:16]
	v_fma_f64 v[19:20], -v[17:18], v[17:18], v[11:12]
	v_fma_f64 v[17:18], v[19:20], v[15:16], v[17:18]
	v_fma_f64 v[19:20], -v[17:18], v[17:18], v[11:12]
	v_fma_f64 v[15:16], v[19:20], v[15:16], v[17:18]
	v_cndmask_b32_e64 v17, 0, 0xffffff80, vcc_lo
	v_cmp_class_f64_e64 vcc_lo, v[11:12], 0x260
	v_ldexp_f64 v[15:16], v[15:16], v17
	v_cndmask_b32_e32 v12, v16, v12, vcc_lo
	v_cndmask_b32_e32 v11, v15, v11, vcc_lo
	v_mul_f64 v[11:12], v[9:10], v[11:12]
.LBB21_8:                               ;   in Loop: Header=BB21_5 Depth=1
	s_or_b32 exec_lo, exec_lo, s8
.LBB21_9:                               ;   in Loop: Header=BB21_5 Depth=1
	s_andn2_saveexec_b32 s7, s7
	s_cbranch_execz .LBB21_11
; %bb.10:                               ;   in Loop: Header=BB21_5 Depth=1
	v_div_scale_f64 v[11:12], null, v[0:1], v[0:1], v[9:10]
	v_div_scale_f64 v[19:20], vcc_lo, v[9:10], v[0:1], v[9:10]
	v_rcp_f64_e32 v[15:16], v[11:12]
	v_fma_f64 v[17:18], -v[11:12], v[15:16], 1.0
	v_fma_f64 v[15:16], v[15:16], v[17:18], v[15:16]
	v_fma_f64 v[17:18], -v[11:12], v[15:16], 1.0
	v_fma_f64 v[15:16], v[15:16], v[17:18], v[15:16]
	v_mul_f64 v[17:18], v[19:20], v[15:16]
	v_fma_f64 v[11:12], -v[11:12], v[17:18], v[19:20]
	v_div_fmas_f64 v[11:12], v[11:12], v[15:16], v[17:18]
	v_div_fixup_f64 v[11:12], v[11:12], v[0:1], v[9:10]
	v_fma_f64 v[11:12], v[11:12], v[11:12], 1.0
	v_cmp_gt_f64_e32 vcc_lo, 0x10000000, v[11:12]
	v_cndmask_b32_e64 v15, 0, 0x100, vcc_lo
	v_ldexp_f64 v[11:12], v[11:12], v15
	v_rsq_f64_e32 v[15:16], v[11:12]
	v_mul_f64 v[17:18], v[11:12], v[15:16]
	v_mul_f64 v[15:16], v[15:16], 0.5
	v_fma_f64 v[19:20], -v[15:16], v[17:18], 0.5
	v_fma_f64 v[17:18], v[17:18], v[19:20], v[17:18]
	v_fma_f64 v[15:16], v[15:16], v[19:20], v[15:16]
	v_fma_f64 v[19:20], -v[17:18], v[17:18], v[11:12]
	v_fma_f64 v[17:18], v[19:20], v[15:16], v[17:18]
	v_fma_f64 v[19:20], -v[17:18], v[17:18], v[11:12]
	v_fma_f64 v[15:16], v[19:20], v[15:16], v[17:18]
	v_cndmask_b32_e64 v17, 0, 0xffffff80, vcc_lo
	v_cmp_class_f64_e64 vcc_lo, v[11:12], 0x260
	v_ldexp_f64 v[15:16], v[15:16], v17
	v_cndmask_b32_e32 v12, v16, v12, vcc_lo
	v_cndmask_b32_e32 v11, v15, v11, vcc_lo
	v_mul_f64 v[11:12], v[0:1], v[11:12]
.LBB21_11:                              ;   in Loop: Header=BB21_5 Depth=1
	s_or_b32 exec_lo, exec_lo, s7
	s_mov_b32 s7, exec_lo
	v_cmpx_lt_f64_e32 s[4:5], v[11:12]
	s_cbranch_execz .LBB21_4
; %bb.12:                               ;   in Loop: Header=BB21_5 Depth=1
                                        ; implicit-def: $vgpr11_vgpr12
	s_and_saveexec_b32 s8, s0
	s_xor_b32 s0, exec_lo, s8
	s_cbranch_execz .LBB21_16
; %bb.13:                               ;   in Loop: Header=BB21_5 Depth=1
	v_mov_b32_e32 v11, 0
	v_mov_b32_e32 v12, 0
	s_mov_b32 s8, exec_lo
	v_cmpx_neq_f64_e32 0, v[2:3]
	s_cbranch_execz .LBB21_15
; %bb.14:                               ;   in Loop: Header=BB21_5 Depth=1
	v_div_scale_f64 v[2:3], null, v[9:10], v[9:10], v[0:1]
	v_div_scale_f64 v[17:18], vcc_lo, v[0:1], v[9:10], v[0:1]
	v_rcp_f64_e32 v[11:12], v[2:3]
	v_fma_f64 v[15:16], -v[2:3], v[11:12], 1.0
	v_fma_f64 v[11:12], v[11:12], v[15:16], v[11:12]
	v_fma_f64 v[15:16], -v[2:3], v[11:12], 1.0
	v_fma_f64 v[11:12], v[11:12], v[15:16], v[11:12]
	v_mul_f64 v[15:16], v[17:18], v[11:12]
	v_fma_f64 v[2:3], -v[2:3], v[15:16], v[17:18]
	v_div_fmas_f64 v[2:3], v[2:3], v[11:12], v[15:16]
	v_div_fixup_f64 v[0:1], v[2:3], v[9:10], v[0:1]
	v_fma_f64 v[0:1], v[0:1], v[0:1], 1.0
	v_cmp_gt_f64_e32 vcc_lo, 0x10000000, v[0:1]
	v_cndmask_b32_e64 v2, 0, 0x100, vcc_lo
	v_ldexp_f64 v[0:1], v[0:1], v2
	v_rsq_f64_e32 v[2:3], v[0:1]
	v_mul_f64 v[11:12], v[0:1], v[2:3]
	v_mul_f64 v[2:3], v[2:3], 0.5
	v_fma_f64 v[15:16], -v[2:3], v[11:12], 0.5
	v_fma_f64 v[11:12], v[11:12], v[15:16], v[11:12]
	v_fma_f64 v[2:3], v[2:3], v[15:16], v[2:3]
	v_fma_f64 v[15:16], -v[11:12], v[11:12], v[0:1]
	v_fma_f64 v[11:12], v[15:16], v[2:3], v[11:12]
	v_fma_f64 v[15:16], -v[11:12], v[11:12], v[0:1]
	v_fma_f64 v[2:3], v[15:16], v[2:3], v[11:12]
	v_cndmask_b32_e64 v11, 0, 0xffffff80, vcc_lo
	v_cmp_class_f64_e64 vcc_lo, v[0:1], 0x260
	v_ldexp_f64 v[2:3], v[2:3], v11
	v_cndmask_b32_e32 v1, v3, v1, vcc_lo
	v_cndmask_b32_e32 v0, v2, v0, vcc_lo
	v_mul_f64 v[11:12], v[9:10], v[0:1]
.LBB21_15:                              ;   in Loop: Header=BB21_5 Depth=1
	s_or_b32 exec_lo, exec_lo, s8
                                        ; implicit-def: $vgpr0_vgpr1
                                        ; implicit-def: $vgpr9_vgpr10
.LBB21_16:                              ;   in Loop: Header=BB21_5 Depth=1
	s_andn2_saveexec_b32 s0, s0
	s_cbranch_execz .LBB21_18
; %bb.17:                               ;   in Loop: Header=BB21_5 Depth=1
	v_div_scale_f64 v[2:3], null, v[0:1], v[0:1], v[9:10]
	v_div_scale_f64 v[17:18], vcc_lo, v[9:10], v[0:1], v[9:10]
	v_rcp_f64_e32 v[11:12], v[2:3]
	v_fma_f64 v[15:16], -v[2:3], v[11:12], 1.0
	v_fma_f64 v[11:12], v[11:12], v[15:16], v[11:12]
	v_fma_f64 v[15:16], -v[2:3], v[11:12], 1.0
	v_fma_f64 v[11:12], v[11:12], v[15:16], v[11:12]
	v_mul_f64 v[15:16], v[17:18], v[11:12]
	v_fma_f64 v[2:3], -v[2:3], v[15:16], v[17:18]
	v_div_fmas_f64 v[2:3], v[2:3], v[11:12], v[15:16]
	v_div_fixup_f64 v[2:3], v[2:3], v[0:1], v[9:10]
	v_fma_f64 v[2:3], v[2:3], v[2:3], 1.0
	v_cmp_gt_f64_e32 vcc_lo, 0x10000000, v[2:3]
	v_cndmask_b32_e64 v9, 0, 0x100, vcc_lo
	v_ldexp_f64 v[2:3], v[2:3], v9
	v_rsq_f64_e32 v[9:10], v[2:3]
	v_mul_f64 v[11:12], v[2:3], v[9:10]
	v_mul_f64 v[9:10], v[9:10], 0.5
	v_fma_f64 v[15:16], -v[9:10], v[11:12], 0.5
	v_fma_f64 v[11:12], v[11:12], v[15:16], v[11:12]
	v_fma_f64 v[9:10], v[9:10], v[15:16], v[9:10]
	v_fma_f64 v[15:16], -v[11:12], v[11:12], v[2:3]
	v_fma_f64 v[11:12], v[15:16], v[9:10], v[11:12]
	v_fma_f64 v[15:16], -v[11:12], v[11:12], v[2:3]
	v_fma_f64 v[9:10], v[15:16], v[9:10], v[11:12]
	v_cndmask_b32_e64 v11, 0, 0xffffff80, vcc_lo
	v_cmp_class_f64_e64 vcc_lo, v[2:3], 0x260
	v_ldexp_f64 v[9:10], v[9:10], v11
	v_cndmask_b32_e32 v3, v10, v3, vcc_lo
	v_cndmask_b32_e32 v2, v9, v2, vcc_lo
	v_mul_f64 v[11:12], v[0:1], v[2:3]
.LBB21_18:                              ;   in Loop: Header=BB21_5 Depth=1
	s_or_b32 exec_lo, exec_lo, s0
	s_mov_b32 s0, exec_lo
	v_cmpx_lt_f64_e32 0x38100000, v[11:12]
	s_cbranch_execz .LBB21_3
; %bb.19:                               ;   in Loop: Header=BB21_5 Depth=1
	v_add_nc_u32_e32 v13, 1, v13
	s_branch .LBB21_3
.LBB21_20:
	s_or_b32 exec_lo, exec_lo, s6
.LBB21_21:
	s_or_b32 exec_lo, exec_lo, s1
	v_mbcnt_lo_u32_b32 v0, -1, 0
	v_xor_b32_e32 v1, 8, v0
	v_xor_b32_e32 v2, 4, v0
	;; [unrolled: 1-line block ×3, first 2 shown]
	v_cmp_gt_i32_e32 vcc_lo, 32, v1
	v_cndmask_b32_e32 v1, v0, v1, vcc_lo
	v_cmp_gt_i32_e32 vcc_lo, 32, v2
	v_lshlrev_b32_e32 v1, 2, v1
	v_cndmask_b32_e32 v2, v0, v2, vcc_lo
	v_cmp_gt_i32_e32 vcc_lo, 32, v3
	ds_bpermute_b32 v1, v1, v13
	v_lshlrev_b32_e32 v2, 2, v2
	v_cndmask_b32_e32 v3, v0, v3, vcc_lo
	v_lshlrev_b32_e32 v3, 2, v3
	s_waitcnt lgkmcnt(0)
	v_add_nc_u32_e32 v1, v1, v13
	ds_bpermute_b32 v2, v2, v1
	s_waitcnt lgkmcnt(0)
	v_add_nc_u32_e32 v1, v2, v1
	ds_bpermute_b32 v2, v3, v1
	v_xor_b32_e32 v3, 1, v0
	v_cmp_gt_i32_e32 vcc_lo, 32, v3
	v_cndmask_b32_e32 v3, v0, v3, vcc_lo
	v_lshl_or_b32 v0, v0, 2, 60
	v_lshlrev_b32_e32 v3, 2, v3
	s_waitcnt lgkmcnt(0)
	v_add_nc_u32_e32 v1, v2, v1
	ds_bpermute_b32 v2, v3, v1
	s_waitcnt lgkmcnt(0)
	v_add_nc_u32_e32 v1, v2, v1
	ds_bpermute_b32 v2, v0, v1
	v_add_co_u32 v0, vcc_lo, s2, v4
	v_add_co_ci_u32_e64 v1, null, s3, v5, vcc_lo
	s_waitcnt lgkmcnt(0)
	global_store_dword v[0:1], v2, off
.LBB21_22:
	s_endpgm
	.section	.rodata,"a",@progbits
	.p2align	6, 0x0
	.amdhsa_kernel _ZN9rocsparseL19nnz_compress_kernelILi1024ELi64ELi16E21rocsparse_complex_numIdEEEvi21rocsparse_index_base_PKT2_PKiPiS4_
		.amdhsa_group_segment_fixed_size 0
		.amdhsa_private_segment_fixed_size 0
		.amdhsa_kernarg_size 48
		.amdhsa_user_sgpr_count 6
		.amdhsa_user_sgpr_private_segment_buffer 1
		.amdhsa_user_sgpr_dispatch_ptr 0
		.amdhsa_user_sgpr_queue_ptr 0
		.amdhsa_user_sgpr_kernarg_segment_ptr 1
		.amdhsa_user_sgpr_dispatch_id 0
		.amdhsa_user_sgpr_flat_scratch_init 0
		.amdhsa_user_sgpr_private_segment_size 0
		.amdhsa_wavefront_size32 1
		.amdhsa_uses_dynamic_stack 0
		.amdhsa_system_sgpr_private_segment_wavefront_offset 0
		.amdhsa_system_sgpr_workgroup_id_x 1
		.amdhsa_system_sgpr_workgroup_id_y 0
		.amdhsa_system_sgpr_workgroup_id_z 0
		.amdhsa_system_sgpr_workgroup_info 0
		.amdhsa_system_vgpr_workitem_id 0
		.amdhsa_next_free_vgpr 21
		.amdhsa_next_free_sgpr 10
		.amdhsa_reserve_vcc 1
		.amdhsa_reserve_flat_scratch 0
		.amdhsa_float_round_mode_32 0
		.amdhsa_float_round_mode_16_64 0
		.amdhsa_float_denorm_mode_32 3
		.amdhsa_float_denorm_mode_16_64 3
		.amdhsa_dx10_clamp 1
		.amdhsa_ieee_mode 1
		.amdhsa_fp16_overflow 0
		.amdhsa_workgroup_processor_mode 1
		.amdhsa_memory_ordered 1
		.amdhsa_forward_progress 1
		.amdhsa_shared_vgpr_count 0
		.amdhsa_exception_fp_ieee_invalid_op 0
		.amdhsa_exception_fp_denorm_src 0
		.amdhsa_exception_fp_ieee_div_zero 0
		.amdhsa_exception_fp_ieee_overflow 0
		.amdhsa_exception_fp_ieee_underflow 0
		.amdhsa_exception_fp_ieee_inexact 0
		.amdhsa_exception_int_div_zero 0
	.end_amdhsa_kernel
	.section	.text._ZN9rocsparseL19nnz_compress_kernelILi1024ELi64ELi16E21rocsparse_complex_numIdEEEvi21rocsparse_index_base_PKT2_PKiPiS4_,"axG",@progbits,_ZN9rocsparseL19nnz_compress_kernelILi1024ELi64ELi16E21rocsparse_complex_numIdEEEvi21rocsparse_index_base_PKT2_PKiPiS4_,comdat
.Lfunc_end21:
	.size	_ZN9rocsparseL19nnz_compress_kernelILi1024ELi64ELi16E21rocsparse_complex_numIdEEEvi21rocsparse_index_base_PKT2_PKiPiS4_, .Lfunc_end21-_ZN9rocsparseL19nnz_compress_kernelILi1024ELi64ELi16E21rocsparse_complex_numIdEEEvi21rocsparse_index_base_PKT2_PKiPiS4_
                                        ; -- End function
	.set _ZN9rocsparseL19nnz_compress_kernelILi1024ELi64ELi16E21rocsparse_complex_numIdEEEvi21rocsparse_index_base_PKT2_PKiPiS4_.num_vgpr, 21
	.set _ZN9rocsparseL19nnz_compress_kernelILi1024ELi64ELi16E21rocsparse_complex_numIdEEEvi21rocsparse_index_base_PKT2_PKiPiS4_.num_agpr, 0
	.set _ZN9rocsparseL19nnz_compress_kernelILi1024ELi64ELi16E21rocsparse_complex_numIdEEEvi21rocsparse_index_base_PKT2_PKiPiS4_.numbered_sgpr, 10
	.set _ZN9rocsparseL19nnz_compress_kernelILi1024ELi64ELi16E21rocsparse_complex_numIdEEEvi21rocsparse_index_base_PKT2_PKiPiS4_.num_named_barrier, 0
	.set _ZN9rocsparseL19nnz_compress_kernelILi1024ELi64ELi16E21rocsparse_complex_numIdEEEvi21rocsparse_index_base_PKT2_PKiPiS4_.private_seg_size, 0
	.set _ZN9rocsparseL19nnz_compress_kernelILi1024ELi64ELi16E21rocsparse_complex_numIdEEEvi21rocsparse_index_base_PKT2_PKiPiS4_.uses_vcc, 1
	.set _ZN9rocsparseL19nnz_compress_kernelILi1024ELi64ELi16E21rocsparse_complex_numIdEEEvi21rocsparse_index_base_PKT2_PKiPiS4_.uses_flat_scratch, 0
	.set _ZN9rocsparseL19nnz_compress_kernelILi1024ELi64ELi16E21rocsparse_complex_numIdEEEvi21rocsparse_index_base_PKT2_PKiPiS4_.has_dyn_sized_stack, 0
	.set _ZN9rocsparseL19nnz_compress_kernelILi1024ELi64ELi16E21rocsparse_complex_numIdEEEvi21rocsparse_index_base_PKT2_PKiPiS4_.has_recursion, 0
	.set _ZN9rocsparseL19nnz_compress_kernelILi1024ELi64ELi16E21rocsparse_complex_numIdEEEvi21rocsparse_index_base_PKT2_PKiPiS4_.has_indirect_call, 0
	.section	.AMDGPU.csdata,"",@progbits
; Kernel info:
; codeLenInByte = 1608
; TotalNumSgprs: 12
; NumVgprs: 21
; ScratchSize: 0
; MemoryBound: 0
; FloatMode: 240
; IeeeMode: 1
; LDSByteSize: 0 bytes/workgroup (compile time only)
; SGPRBlocks: 0
; VGPRBlocks: 2
; NumSGPRsForWavesPerEU: 12
; NumVGPRsForWavesPerEU: 21
; Occupancy: 16
; WaveLimiterHint : 0
; COMPUTE_PGM_RSRC2:SCRATCH_EN: 0
; COMPUTE_PGM_RSRC2:USER_SGPR: 6
; COMPUTE_PGM_RSRC2:TRAP_HANDLER: 0
; COMPUTE_PGM_RSRC2:TGID_X_EN: 1
; COMPUTE_PGM_RSRC2:TGID_Y_EN: 0
; COMPUTE_PGM_RSRC2:TGID_Z_EN: 0
; COMPUTE_PGM_RSRC2:TIDIG_COMP_CNT: 0
	.section	.text._ZN9rocsparseL19nnz_compress_kernelILi1024ELi32ELi32E21rocsparse_complex_numIdEEEvi21rocsparse_index_base_PKT2_PKiPiS4_,"axG",@progbits,_ZN9rocsparseL19nnz_compress_kernelILi1024ELi32ELi32E21rocsparse_complex_numIdEEEvi21rocsparse_index_base_PKT2_PKiPiS4_,comdat
	.globl	_ZN9rocsparseL19nnz_compress_kernelILi1024ELi32ELi32E21rocsparse_complex_numIdEEEvi21rocsparse_index_base_PKT2_PKiPiS4_ ; -- Begin function _ZN9rocsparseL19nnz_compress_kernelILi1024ELi32ELi32E21rocsparse_complex_numIdEEEvi21rocsparse_index_base_PKT2_PKiPiS4_
	.p2align	8
	.type	_ZN9rocsparseL19nnz_compress_kernelILi1024ELi32ELi32E21rocsparse_complex_numIdEEEvi21rocsparse_index_base_PKT2_PKiPiS4_,@function
_ZN9rocsparseL19nnz_compress_kernelILi1024ELi32ELi32E21rocsparse_complex_numIdEEEvi21rocsparse_index_base_PKT2_PKiPiS4_: ; @_ZN9rocsparseL19nnz_compress_kernelILi1024ELi32ELi32E21rocsparse_complex_numIdEEEvi21rocsparse_index_base_PKT2_PKiPiS4_
; %bb.0:
	s_load_dwordx2 s[8:9], s[4:5], 0x0
	v_lshrrev_b32_e32 v1, 5, v0
	s_mov_b32 s0, exec_lo
	v_lshl_or_b32 v1, s6, 5, v1
	s_waitcnt lgkmcnt(0)
	v_cmpx_gt_i32_e64 s8, v1
	s_cbranch_execz .LBB22_22
; %bb.1:
	s_load_dwordx4 s[0:3], s[4:5], 0x10
	v_ashrrev_i32_e32 v2, 31, v1
	v_and_b32_e32 v0, 31, v0
	v_mov_b32_e32 v13, 0
	v_lshlrev_b64 v[4:5], 2, v[1:2]
	v_subrev_nc_u32_e32 v0, s9, v0
	s_waitcnt lgkmcnt(0)
	v_add_co_u32 v1, vcc_lo, s0, v4
	v_add_co_ci_u32_e64 v2, null, s1, v5, vcc_lo
	s_mov_b32 s1, exec_lo
	global_load_dwordx2 v[1:2], v[1:2], off
	s_waitcnt vmcnt(0)
	v_subrev_nc_u32_e32 v14, s9, v2
	v_add_nc_u32_e32 v6, v1, v0
	v_cmpx_lt_i32_e64 v6, v14
	s_cbranch_execz .LBB22_21
; %bb.2:
	s_load_dwordx2 s[6:7], s[4:5], 0x8
	v_ashrrev_i32_e32 v7, 31, v6
	s_load_dwordx2 s[4:5], s[4:5], 0x20
	v_mov_b32_e32 v13, 0
	v_lshlrev_b64 v[0:1], 4, v[6:7]
	s_waitcnt lgkmcnt(0)
	v_add_co_u32 v0, vcc_lo, s6, v0
	v_add_co_ci_u32_e64 v1, null, s7, v1, vcc_lo
	s_mov_b32 s6, 0
	v_add_co_u32 v7, vcc_lo, v0, 8
	v_add_co_ci_u32_e64 v8, null, 0, v1, vcc_lo
	s_branch .LBB22_5
.LBB22_3:                               ;   in Loop: Header=BB22_5 Depth=1
	s_or_b32 exec_lo, exec_lo, s0
.LBB22_4:                               ;   in Loop: Header=BB22_5 Depth=1
	s_or_b32 exec_lo, exec_lo, s7
	v_add_nc_u32_e32 v6, 32, v6
	v_add_co_u32 v7, s0, 0x200, v7
	v_add_co_ci_u32_e64 v8, null, 0, v8, s0
	v_cmp_ge_i32_e32 vcc_lo, v6, v14
	s_or_b32 s6, vcc_lo, s6
	s_andn2_b32 exec_lo, exec_lo, s6
	s_cbranch_execz .LBB22_20
.LBB22_5:                               ; =>This Inner Loop Header: Depth=1
	global_load_dwordx4 v[0:3], v[7:8], off offset:-8
                                        ; implicit-def: $vgpr11_vgpr12
	s_waitcnt vmcnt(0)
	v_cmp_gt_f64_e32 vcc_lo, 0, v[0:1]
	v_xor_b32_e32 v9, 0x80000000, v1
	v_xor_b32_e32 v10, 0x80000000, v3
	v_cndmask_b32_e32 v1, v1, v9, vcc_lo
	v_cmp_gt_f64_e32 vcc_lo, 0, v[2:3]
	v_mov_b32_e32 v9, v2
	v_cndmask_b32_e32 v10, v3, v10, vcc_lo
	v_cmp_ngt_f64_e64 s0, v[0:1], v[9:10]
	s_and_saveexec_b32 s7, s0
	s_xor_b32 s7, exec_lo, s7
	s_cbranch_execz .LBB22_9
; %bb.6:                                ;   in Loop: Header=BB22_5 Depth=1
	v_mov_b32_e32 v11, 0
	v_mov_b32_e32 v12, 0
	s_mov_b32 s8, exec_lo
	v_cmpx_neq_f64_e32 0, v[2:3]
	s_cbranch_execz .LBB22_8
; %bb.7:                                ;   in Loop: Header=BB22_5 Depth=1
	v_div_scale_f64 v[11:12], null, v[9:10], v[9:10], v[0:1]
	v_div_scale_f64 v[19:20], vcc_lo, v[0:1], v[9:10], v[0:1]
	v_rcp_f64_e32 v[15:16], v[11:12]
	v_fma_f64 v[17:18], -v[11:12], v[15:16], 1.0
	v_fma_f64 v[15:16], v[15:16], v[17:18], v[15:16]
	v_fma_f64 v[17:18], -v[11:12], v[15:16], 1.0
	v_fma_f64 v[15:16], v[15:16], v[17:18], v[15:16]
	v_mul_f64 v[17:18], v[19:20], v[15:16]
	v_fma_f64 v[11:12], -v[11:12], v[17:18], v[19:20]
	v_div_fmas_f64 v[11:12], v[11:12], v[15:16], v[17:18]
	v_div_fixup_f64 v[11:12], v[11:12], v[9:10], v[0:1]
	v_fma_f64 v[11:12], v[11:12], v[11:12], 1.0
	v_cmp_gt_f64_e32 vcc_lo, 0x10000000, v[11:12]
	v_cndmask_b32_e64 v15, 0, 0x100, vcc_lo
	v_ldexp_f64 v[11:12], v[11:12], v15
	v_rsq_f64_e32 v[15:16], v[11:12]
	v_mul_f64 v[17:18], v[11:12], v[15:16]
	v_mul_f64 v[15:16], v[15:16], 0.5
	v_fma_f64 v[19:20], -v[15:16], v[17:18], 0.5
	v_fma_f64 v[17:18], v[17:18], v[19:20], v[17:18]
	v_fma_f64 v[15:16], v[15:16], v[19:20], v[15:16]
	v_fma_f64 v[19:20], -v[17:18], v[17:18], v[11:12]
	v_fma_f64 v[17:18], v[19:20], v[15:16], v[17:18]
	v_fma_f64 v[19:20], -v[17:18], v[17:18], v[11:12]
	v_fma_f64 v[15:16], v[19:20], v[15:16], v[17:18]
	v_cndmask_b32_e64 v17, 0, 0xffffff80, vcc_lo
	v_cmp_class_f64_e64 vcc_lo, v[11:12], 0x260
	v_ldexp_f64 v[15:16], v[15:16], v17
	v_cndmask_b32_e32 v12, v16, v12, vcc_lo
	v_cndmask_b32_e32 v11, v15, v11, vcc_lo
	v_mul_f64 v[11:12], v[9:10], v[11:12]
.LBB22_8:                               ;   in Loop: Header=BB22_5 Depth=1
	s_or_b32 exec_lo, exec_lo, s8
.LBB22_9:                               ;   in Loop: Header=BB22_5 Depth=1
	s_andn2_saveexec_b32 s7, s7
	s_cbranch_execz .LBB22_11
; %bb.10:                               ;   in Loop: Header=BB22_5 Depth=1
	v_div_scale_f64 v[11:12], null, v[0:1], v[0:1], v[9:10]
	v_div_scale_f64 v[19:20], vcc_lo, v[9:10], v[0:1], v[9:10]
	v_rcp_f64_e32 v[15:16], v[11:12]
	v_fma_f64 v[17:18], -v[11:12], v[15:16], 1.0
	v_fma_f64 v[15:16], v[15:16], v[17:18], v[15:16]
	v_fma_f64 v[17:18], -v[11:12], v[15:16], 1.0
	v_fma_f64 v[15:16], v[15:16], v[17:18], v[15:16]
	v_mul_f64 v[17:18], v[19:20], v[15:16]
	v_fma_f64 v[11:12], -v[11:12], v[17:18], v[19:20]
	v_div_fmas_f64 v[11:12], v[11:12], v[15:16], v[17:18]
	v_div_fixup_f64 v[11:12], v[11:12], v[0:1], v[9:10]
	v_fma_f64 v[11:12], v[11:12], v[11:12], 1.0
	v_cmp_gt_f64_e32 vcc_lo, 0x10000000, v[11:12]
	v_cndmask_b32_e64 v15, 0, 0x100, vcc_lo
	v_ldexp_f64 v[11:12], v[11:12], v15
	v_rsq_f64_e32 v[15:16], v[11:12]
	v_mul_f64 v[17:18], v[11:12], v[15:16]
	v_mul_f64 v[15:16], v[15:16], 0.5
	v_fma_f64 v[19:20], -v[15:16], v[17:18], 0.5
	v_fma_f64 v[17:18], v[17:18], v[19:20], v[17:18]
	v_fma_f64 v[15:16], v[15:16], v[19:20], v[15:16]
	v_fma_f64 v[19:20], -v[17:18], v[17:18], v[11:12]
	v_fma_f64 v[17:18], v[19:20], v[15:16], v[17:18]
	v_fma_f64 v[19:20], -v[17:18], v[17:18], v[11:12]
	v_fma_f64 v[15:16], v[19:20], v[15:16], v[17:18]
	v_cndmask_b32_e64 v17, 0, 0xffffff80, vcc_lo
	v_cmp_class_f64_e64 vcc_lo, v[11:12], 0x260
	v_ldexp_f64 v[15:16], v[15:16], v17
	v_cndmask_b32_e32 v12, v16, v12, vcc_lo
	v_cndmask_b32_e32 v11, v15, v11, vcc_lo
	v_mul_f64 v[11:12], v[0:1], v[11:12]
.LBB22_11:                              ;   in Loop: Header=BB22_5 Depth=1
	s_or_b32 exec_lo, exec_lo, s7
	s_mov_b32 s7, exec_lo
	v_cmpx_lt_f64_e32 s[4:5], v[11:12]
	s_cbranch_execz .LBB22_4
; %bb.12:                               ;   in Loop: Header=BB22_5 Depth=1
                                        ; implicit-def: $vgpr11_vgpr12
	s_and_saveexec_b32 s8, s0
	s_xor_b32 s0, exec_lo, s8
	s_cbranch_execz .LBB22_16
; %bb.13:                               ;   in Loop: Header=BB22_5 Depth=1
	v_mov_b32_e32 v11, 0
	v_mov_b32_e32 v12, 0
	s_mov_b32 s8, exec_lo
	v_cmpx_neq_f64_e32 0, v[2:3]
	s_cbranch_execz .LBB22_15
; %bb.14:                               ;   in Loop: Header=BB22_5 Depth=1
	v_div_scale_f64 v[2:3], null, v[9:10], v[9:10], v[0:1]
	v_div_scale_f64 v[17:18], vcc_lo, v[0:1], v[9:10], v[0:1]
	v_rcp_f64_e32 v[11:12], v[2:3]
	v_fma_f64 v[15:16], -v[2:3], v[11:12], 1.0
	v_fma_f64 v[11:12], v[11:12], v[15:16], v[11:12]
	v_fma_f64 v[15:16], -v[2:3], v[11:12], 1.0
	v_fma_f64 v[11:12], v[11:12], v[15:16], v[11:12]
	v_mul_f64 v[15:16], v[17:18], v[11:12]
	v_fma_f64 v[2:3], -v[2:3], v[15:16], v[17:18]
	v_div_fmas_f64 v[2:3], v[2:3], v[11:12], v[15:16]
	v_div_fixup_f64 v[0:1], v[2:3], v[9:10], v[0:1]
	v_fma_f64 v[0:1], v[0:1], v[0:1], 1.0
	v_cmp_gt_f64_e32 vcc_lo, 0x10000000, v[0:1]
	v_cndmask_b32_e64 v2, 0, 0x100, vcc_lo
	v_ldexp_f64 v[0:1], v[0:1], v2
	v_rsq_f64_e32 v[2:3], v[0:1]
	v_mul_f64 v[11:12], v[0:1], v[2:3]
	v_mul_f64 v[2:3], v[2:3], 0.5
	v_fma_f64 v[15:16], -v[2:3], v[11:12], 0.5
	v_fma_f64 v[11:12], v[11:12], v[15:16], v[11:12]
	v_fma_f64 v[2:3], v[2:3], v[15:16], v[2:3]
	v_fma_f64 v[15:16], -v[11:12], v[11:12], v[0:1]
	v_fma_f64 v[11:12], v[15:16], v[2:3], v[11:12]
	v_fma_f64 v[15:16], -v[11:12], v[11:12], v[0:1]
	v_fma_f64 v[2:3], v[15:16], v[2:3], v[11:12]
	v_cndmask_b32_e64 v11, 0, 0xffffff80, vcc_lo
	v_cmp_class_f64_e64 vcc_lo, v[0:1], 0x260
	v_ldexp_f64 v[2:3], v[2:3], v11
	v_cndmask_b32_e32 v1, v3, v1, vcc_lo
	v_cndmask_b32_e32 v0, v2, v0, vcc_lo
	v_mul_f64 v[11:12], v[9:10], v[0:1]
.LBB22_15:                              ;   in Loop: Header=BB22_5 Depth=1
	s_or_b32 exec_lo, exec_lo, s8
                                        ; implicit-def: $vgpr0_vgpr1
                                        ; implicit-def: $vgpr9_vgpr10
.LBB22_16:                              ;   in Loop: Header=BB22_5 Depth=1
	s_andn2_saveexec_b32 s0, s0
	s_cbranch_execz .LBB22_18
; %bb.17:                               ;   in Loop: Header=BB22_5 Depth=1
	v_div_scale_f64 v[2:3], null, v[0:1], v[0:1], v[9:10]
	v_div_scale_f64 v[17:18], vcc_lo, v[9:10], v[0:1], v[9:10]
	v_rcp_f64_e32 v[11:12], v[2:3]
	v_fma_f64 v[15:16], -v[2:3], v[11:12], 1.0
	v_fma_f64 v[11:12], v[11:12], v[15:16], v[11:12]
	v_fma_f64 v[15:16], -v[2:3], v[11:12], 1.0
	v_fma_f64 v[11:12], v[11:12], v[15:16], v[11:12]
	v_mul_f64 v[15:16], v[17:18], v[11:12]
	v_fma_f64 v[2:3], -v[2:3], v[15:16], v[17:18]
	v_div_fmas_f64 v[2:3], v[2:3], v[11:12], v[15:16]
	v_div_fixup_f64 v[2:3], v[2:3], v[0:1], v[9:10]
	v_fma_f64 v[2:3], v[2:3], v[2:3], 1.0
	v_cmp_gt_f64_e32 vcc_lo, 0x10000000, v[2:3]
	v_cndmask_b32_e64 v9, 0, 0x100, vcc_lo
	v_ldexp_f64 v[2:3], v[2:3], v9
	v_rsq_f64_e32 v[9:10], v[2:3]
	v_mul_f64 v[11:12], v[2:3], v[9:10]
	v_mul_f64 v[9:10], v[9:10], 0.5
	v_fma_f64 v[15:16], -v[9:10], v[11:12], 0.5
	v_fma_f64 v[11:12], v[11:12], v[15:16], v[11:12]
	v_fma_f64 v[9:10], v[9:10], v[15:16], v[9:10]
	v_fma_f64 v[15:16], -v[11:12], v[11:12], v[2:3]
	v_fma_f64 v[11:12], v[15:16], v[9:10], v[11:12]
	v_fma_f64 v[15:16], -v[11:12], v[11:12], v[2:3]
	v_fma_f64 v[9:10], v[15:16], v[9:10], v[11:12]
	v_cndmask_b32_e64 v11, 0, 0xffffff80, vcc_lo
	v_cmp_class_f64_e64 vcc_lo, v[2:3], 0x260
	v_ldexp_f64 v[9:10], v[9:10], v11
	v_cndmask_b32_e32 v3, v10, v3, vcc_lo
	v_cndmask_b32_e32 v2, v9, v2, vcc_lo
	v_mul_f64 v[11:12], v[0:1], v[2:3]
.LBB22_18:                              ;   in Loop: Header=BB22_5 Depth=1
	s_or_b32 exec_lo, exec_lo, s0
	s_mov_b32 s0, exec_lo
	v_cmpx_lt_f64_e32 0x38100000, v[11:12]
	s_cbranch_execz .LBB22_3
; %bb.19:                               ;   in Loop: Header=BB22_5 Depth=1
	v_add_nc_u32_e32 v13, 1, v13
	s_branch .LBB22_3
.LBB22_20:
	s_or_b32 exec_lo, exec_lo, s6
.LBB22_21:
	s_or_b32 exec_lo, exec_lo, s1
	v_mbcnt_lo_u32_b32 v0, -1, 0
	v_xor_b32_e32 v1, 16, v0
	v_xor_b32_e32 v2, 8, v0
	;; [unrolled: 1-line block ×3, first 2 shown]
	v_cmp_gt_i32_e32 vcc_lo, 32, v1
	v_cndmask_b32_e32 v1, v0, v1, vcc_lo
	v_cmp_gt_i32_e32 vcc_lo, 32, v2
	v_lshlrev_b32_e32 v1, 2, v1
	v_cndmask_b32_e32 v2, v0, v2, vcc_lo
	v_cmp_gt_i32_e32 vcc_lo, 32, v3
	ds_bpermute_b32 v1, v1, v13
	v_lshlrev_b32_e32 v2, 2, v2
	v_cndmask_b32_e32 v3, v0, v3, vcc_lo
	v_lshlrev_b32_e32 v3, 2, v3
	s_waitcnt lgkmcnt(0)
	v_add_nc_u32_e32 v1, v1, v13
	ds_bpermute_b32 v2, v2, v1
	s_waitcnt lgkmcnt(0)
	v_add_nc_u32_e32 v1, v2, v1
	ds_bpermute_b32 v2, v3, v1
	v_xor_b32_e32 v3, 2, v0
	v_cmp_gt_i32_e32 vcc_lo, 32, v3
	v_cndmask_b32_e32 v3, v0, v3, vcc_lo
	v_lshlrev_b32_e32 v3, 2, v3
	s_waitcnt lgkmcnt(0)
	v_add_nc_u32_e32 v1, v2, v1
	ds_bpermute_b32 v2, v3, v1
	v_xor_b32_e32 v3, 1, v0
	v_cmp_gt_i32_e32 vcc_lo, 32, v3
	v_cndmask_b32_e32 v0, v0, v3, vcc_lo
	v_lshlrev_b32_e32 v0, 2, v0
	s_waitcnt lgkmcnt(0)
	v_add_nc_u32_e32 v1, v2, v1
	ds_bpermute_b32 v0, v0, v1
	s_waitcnt lgkmcnt(0)
	v_add_nc_u32_e32 v0, v0, v1
	v_mov_b32_e32 v1, 0
	ds_bpermute_b32 v2, v1, v0 offset:124
	v_add_co_u32 v0, vcc_lo, s2, v4
	v_add_co_ci_u32_e64 v1, null, s3, v5, vcc_lo
	s_waitcnt lgkmcnt(0)
	global_store_dword v[0:1], v2, off
.LBB22_22:
	s_endpgm
	.section	.rodata,"a",@progbits
	.p2align	6, 0x0
	.amdhsa_kernel _ZN9rocsparseL19nnz_compress_kernelILi1024ELi32ELi32E21rocsparse_complex_numIdEEEvi21rocsparse_index_base_PKT2_PKiPiS4_
		.amdhsa_group_segment_fixed_size 0
		.amdhsa_private_segment_fixed_size 0
		.amdhsa_kernarg_size 48
		.amdhsa_user_sgpr_count 6
		.amdhsa_user_sgpr_private_segment_buffer 1
		.amdhsa_user_sgpr_dispatch_ptr 0
		.amdhsa_user_sgpr_queue_ptr 0
		.amdhsa_user_sgpr_kernarg_segment_ptr 1
		.amdhsa_user_sgpr_dispatch_id 0
		.amdhsa_user_sgpr_flat_scratch_init 0
		.amdhsa_user_sgpr_private_segment_size 0
		.amdhsa_wavefront_size32 1
		.amdhsa_uses_dynamic_stack 0
		.amdhsa_system_sgpr_private_segment_wavefront_offset 0
		.amdhsa_system_sgpr_workgroup_id_x 1
		.amdhsa_system_sgpr_workgroup_id_y 0
		.amdhsa_system_sgpr_workgroup_id_z 0
		.amdhsa_system_sgpr_workgroup_info 0
		.amdhsa_system_vgpr_workitem_id 0
		.amdhsa_next_free_vgpr 21
		.amdhsa_next_free_sgpr 10
		.amdhsa_reserve_vcc 1
		.amdhsa_reserve_flat_scratch 0
		.amdhsa_float_round_mode_32 0
		.amdhsa_float_round_mode_16_64 0
		.amdhsa_float_denorm_mode_32 3
		.amdhsa_float_denorm_mode_16_64 3
		.amdhsa_dx10_clamp 1
		.amdhsa_ieee_mode 1
		.amdhsa_fp16_overflow 0
		.amdhsa_workgroup_processor_mode 1
		.amdhsa_memory_ordered 1
		.amdhsa_forward_progress 1
		.amdhsa_shared_vgpr_count 0
		.amdhsa_exception_fp_ieee_invalid_op 0
		.amdhsa_exception_fp_denorm_src 0
		.amdhsa_exception_fp_ieee_div_zero 0
		.amdhsa_exception_fp_ieee_overflow 0
		.amdhsa_exception_fp_ieee_underflow 0
		.amdhsa_exception_fp_ieee_inexact 0
		.amdhsa_exception_int_div_zero 0
	.end_amdhsa_kernel
	.section	.text._ZN9rocsparseL19nnz_compress_kernelILi1024ELi32ELi32E21rocsparse_complex_numIdEEEvi21rocsparse_index_base_PKT2_PKiPiS4_,"axG",@progbits,_ZN9rocsparseL19nnz_compress_kernelILi1024ELi32ELi32E21rocsparse_complex_numIdEEEvi21rocsparse_index_base_PKT2_PKiPiS4_,comdat
.Lfunc_end22:
	.size	_ZN9rocsparseL19nnz_compress_kernelILi1024ELi32ELi32E21rocsparse_complex_numIdEEEvi21rocsparse_index_base_PKT2_PKiPiS4_, .Lfunc_end22-_ZN9rocsparseL19nnz_compress_kernelILi1024ELi32ELi32E21rocsparse_complex_numIdEEEvi21rocsparse_index_base_PKT2_PKiPiS4_
                                        ; -- End function
	.set _ZN9rocsparseL19nnz_compress_kernelILi1024ELi32ELi32E21rocsparse_complex_numIdEEEvi21rocsparse_index_base_PKT2_PKiPiS4_.num_vgpr, 21
	.set _ZN9rocsparseL19nnz_compress_kernelILi1024ELi32ELi32E21rocsparse_complex_numIdEEEvi21rocsparse_index_base_PKT2_PKiPiS4_.num_agpr, 0
	.set _ZN9rocsparseL19nnz_compress_kernelILi1024ELi32ELi32E21rocsparse_complex_numIdEEEvi21rocsparse_index_base_PKT2_PKiPiS4_.numbered_sgpr, 10
	.set _ZN9rocsparseL19nnz_compress_kernelILi1024ELi32ELi32E21rocsparse_complex_numIdEEEvi21rocsparse_index_base_PKT2_PKiPiS4_.num_named_barrier, 0
	.set _ZN9rocsparseL19nnz_compress_kernelILi1024ELi32ELi32E21rocsparse_complex_numIdEEEvi21rocsparse_index_base_PKT2_PKiPiS4_.private_seg_size, 0
	.set _ZN9rocsparseL19nnz_compress_kernelILi1024ELi32ELi32E21rocsparse_complex_numIdEEEvi21rocsparse_index_base_PKT2_PKiPiS4_.uses_vcc, 1
	.set _ZN9rocsparseL19nnz_compress_kernelILi1024ELi32ELi32E21rocsparse_complex_numIdEEEvi21rocsparse_index_base_PKT2_PKiPiS4_.uses_flat_scratch, 0
	.set _ZN9rocsparseL19nnz_compress_kernelILi1024ELi32ELi32E21rocsparse_complex_numIdEEEvi21rocsparse_index_base_PKT2_PKiPiS4_.has_dyn_sized_stack, 0
	.set _ZN9rocsparseL19nnz_compress_kernelILi1024ELi32ELi32E21rocsparse_complex_numIdEEEvi21rocsparse_index_base_PKT2_PKiPiS4_.has_recursion, 0
	.set _ZN9rocsparseL19nnz_compress_kernelILi1024ELi32ELi32E21rocsparse_complex_numIdEEEvi21rocsparse_index_base_PKT2_PKiPiS4_.has_indirect_call, 0
	.section	.AMDGPU.csdata,"",@progbits
; Kernel info:
; codeLenInByte = 1636
; TotalNumSgprs: 12
; NumVgprs: 21
; ScratchSize: 0
; MemoryBound: 0
; FloatMode: 240
; IeeeMode: 1
; LDSByteSize: 0 bytes/workgroup (compile time only)
; SGPRBlocks: 0
; VGPRBlocks: 2
; NumSGPRsForWavesPerEU: 12
; NumVGPRsForWavesPerEU: 21
; Occupancy: 16
; WaveLimiterHint : 0
; COMPUTE_PGM_RSRC2:SCRATCH_EN: 0
; COMPUTE_PGM_RSRC2:USER_SGPR: 6
; COMPUTE_PGM_RSRC2:TRAP_HANDLER: 0
; COMPUTE_PGM_RSRC2:TGID_X_EN: 1
; COMPUTE_PGM_RSRC2:TGID_Y_EN: 0
; COMPUTE_PGM_RSRC2:TGID_Z_EN: 0
; COMPUTE_PGM_RSRC2:TIDIG_COMP_CNT: 0
	.section	.text._ZN9rocsparseL19nnz_compress_kernelILi1024ELi16ELi64E21rocsparse_complex_numIdEEEvi21rocsparse_index_base_PKT2_PKiPiS4_,"axG",@progbits,_ZN9rocsparseL19nnz_compress_kernelILi1024ELi16ELi64E21rocsparse_complex_numIdEEEvi21rocsparse_index_base_PKT2_PKiPiS4_,comdat
	.globl	_ZN9rocsparseL19nnz_compress_kernelILi1024ELi16ELi64E21rocsparse_complex_numIdEEEvi21rocsparse_index_base_PKT2_PKiPiS4_ ; -- Begin function _ZN9rocsparseL19nnz_compress_kernelILi1024ELi16ELi64E21rocsparse_complex_numIdEEEvi21rocsparse_index_base_PKT2_PKiPiS4_
	.p2align	8
	.type	_ZN9rocsparseL19nnz_compress_kernelILi1024ELi16ELi64E21rocsparse_complex_numIdEEEvi21rocsparse_index_base_PKT2_PKiPiS4_,@function
_ZN9rocsparseL19nnz_compress_kernelILi1024ELi16ELi64E21rocsparse_complex_numIdEEEvi21rocsparse_index_base_PKT2_PKiPiS4_: ; @_ZN9rocsparseL19nnz_compress_kernelILi1024ELi16ELi64E21rocsparse_complex_numIdEEEvi21rocsparse_index_base_PKT2_PKiPiS4_
; %bb.0:
	s_load_dwordx2 s[8:9], s[4:5], 0x0
	v_lshrrev_b32_e32 v1, 6, v0
	s_mov_b32 s0, exec_lo
	v_lshl_or_b32 v1, s6, 4, v1
	s_waitcnt lgkmcnt(0)
	v_cmpx_gt_i32_e64 s8, v1
	s_cbranch_execz .LBB23_22
; %bb.1:
	s_load_dwordx4 s[0:3], s[4:5], 0x10
	v_ashrrev_i32_e32 v2, 31, v1
	v_and_b32_e32 v0, 63, v0
	v_mov_b32_e32 v13, 0
	v_lshlrev_b64 v[4:5], 2, v[1:2]
	v_subrev_nc_u32_e32 v0, s9, v0
	s_waitcnt lgkmcnt(0)
	v_add_co_u32 v1, vcc_lo, s0, v4
	v_add_co_ci_u32_e64 v2, null, s1, v5, vcc_lo
	s_mov_b32 s1, exec_lo
	global_load_dwordx2 v[1:2], v[1:2], off
	s_waitcnt vmcnt(0)
	v_subrev_nc_u32_e32 v14, s9, v2
	v_add_nc_u32_e32 v6, v1, v0
	v_cmpx_lt_i32_e64 v6, v14
	s_cbranch_execz .LBB23_21
; %bb.2:
	s_load_dwordx2 s[6:7], s[4:5], 0x8
	v_ashrrev_i32_e32 v7, 31, v6
	s_load_dwordx2 s[4:5], s[4:5], 0x20
	v_mov_b32_e32 v13, 0
	v_lshlrev_b64 v[0:1], 4, v[6:7]
	s_waitcnt lgkmcnt(0)
	v_add_co_u32 v0, vcc_lo, s6, v0
	v_add_co_ci_u32_e64 v1, null, s7, v1, vcc_lo
	s_mov_b32 s6, 0
	v_add_co_u32 v7, vcc_lo, v0, 8
	v_add_co_ci_u32_e64 v8, null, 0, v1, vcc_lo
	s_branch .LBB23_5
.LBB23_3:                               ;   in Loop: Header=BB23_5 Depth=1
	s_or_b32 exec_lo, exec_lo, s0
.LBB23_4:                               ;   in Loop: Header=BB23_5 Depth=1
	s_or_b32 exec_lo, exec_lo, s7
	v_add_nc_u32_e32 v6, 64, v6
	v_add_co_u32 v7, s0, 0x400, v7
	v_add_co_ci_u32_e64 v8, null, 0, v8, s0
	v_cmp_ge_i32_e32 vcc_lo, v6, v14
	s_or_b32 s6, vcc_lo, s6
	s_andn2_b32 exec_lo, exec_lo, s6
	s_cbranch_execz .LBB23_20
.LBB23_5:                               ; =>This Inner Loop Header: Depth=1
	global_load_dwordx4 v[0:3], v[7:8], off offset:-8
                                        ; implicit-def: $vgpr11_vgpr12
	s_waitcnt vmcnt(0)
	v_cmp_gt_f64_e32 vcc_lo, 0, v[0:1]
	v_xor_b32_e32 v9, 0x80000000, v1
	v_xor_b32_e32 v10, 0x80000000, v3
	v_cndmask_b32_e32 v1, v1, v9, vcc_lo
	v_cmp_gt_f64_e32 vcc_lo, 0, v[2:3]
	v_mov_b32_e32 v9, v2
	v_cndmask_b32_e32 v10, v3, v10, vcc_lo
	v_cmp_ngt_f64_e64 s0, v[0:1], v[9:10]
	s_and_saveexec_b32 s7, s0
	s_xor_b32 s7, exec_lo, s7
	s_cbranch_execz .LBB23_9
; %bb.6:                                ;   in Loop: Header=BB23_5 Depth=1
	v_mov_b32_e32 v11, 0
	v_mov_b32_e32 v12, 0
	s_mov_b32 s8, exec_lo
	v_cmpx_neq_f64_e32 0, v[2:3]
	s_cbranch_execz .LBB23_8
; %bb.7:                                ;   in Loop: Header=BB23_5 Depth=1
	v_div_scale_f64 v[11:12], null, v[9:10], v[9:10], v[0:1]
	v_div_scale_f64 v[19:20], vcc_lo, v[0:1], v[9:10], v[0:1]
	v_rcp_f64_e32 v[15:16], v[11:12]
	v_fma_f64 v[17:18], -v[11:12], v[15:16], 1.0
	v_fma_f64 v[15:16], v[15:16], v[17:18], v[15:16]
	v_fma_f64 v[17:18], -v[11:12], v[15:16], 1.0
	v_fma_f64 v[15:16], v[15:16], v[17:18], v[15:16]
	v_mul_f64 v[17:18], v[19:20], v[15:16]
	v_fma_f64 v[11:12], -v[11:12], v[17:18], v[19:20]
	v_div_fmas_f64 v[11:12], v[11:12], v[15:16], v[17:18]
	v_div_fixup_f64 v[11:12], v[11:12], v[9:10], v[0:1]
	v_fma_f64 v[11:12], v[11:12], v[11:12], 1.0
	v_cmp_gt_f64_e32 vcc_lo, 0x10000000, v[11:12]
	v_cndmask_b32_e64 v15, 0, 0x100, vcc_lo
	v_ldexp_f64 v[11:12], v[11:12], v15
	v_rsq_f64_e32 v[15:16], v[11:12]
	v_mul_f64 v[17:18], v[11:12], v[15:16]
	v_mul_f64 v[15:16], v[15:16], 0.5
	v_fma_f64 v[19:20], -v[15:16], v[17:18], 0.5
	v_fma_f64 v[17:18], v[17:18], v[19:20], v[17:18]
	v_fma_f64 v[15:16], v[15:16], v[19:20], v[15:16]
	v_fma_f64 v[19:20], -v[17:18], v[17:18], v[11:12]
	v_fma_f64 v[17:18], v[19:20], v[15:16], v[17:18]
	v_fma_f64 v[19:20], -v[17:18], v[17:18], v[11:12]
	v_fma_f64 v[15:16], v[19:20], v[15:16], v[17:18]
	v_cndmask_b32_e64 v17, 0, 0xffffff80, vcc_lo
	v_cmp_class_f64_e64 vcc_lo, v[11:12], 0x260
	v_ldexp_f64 v[15:16], v[15:16], v17
	v_cndmask_b32_e32 v12, v16, v12, vcc_lo
	v_cndmask_b32_e32 v11, v15, v11, vcc_lo
	v_mul_f64 v[11:12], v[9:10], v[11:12]
.LBB23_8:                               ;   in Loop: Header=BB23_5 Depth=1
	s_or_b32 exec_lo, exec_lo, s8
.LBB23_9:                               ;   in Loop: Header=BB23_5 Depth=1
	s_andn2_saveexec_b32 s7, s7
	s_cbranch_execz .LBB23_11
; %bb.10:                               ;   in Loop: Header=BB23_5 Depth=1
	v_div_scale_f64 v[11:12], null, v[0:1], v[0:1], v[9:10]
	v_div_scale_f64 v[19:20], vcc_lo, v[9:10], v[0:1], v[9:10]
	v_rcp_f64_e32 v[15:16], v[11:12]
	v_fma_f64 v[17:18], -v[11:12], v[15:16], 1.0
	v_fma_f64 v[15:16], v[15:16], v[17:18], v[15:16]
	v_fma_f64 v[17:18], -v[11:12], v[15:16], 1.0
	v_fma_f64 v[15:16], v[15:16], v[17:18], v[15:16]
	v_mul_f64 v[17:18], v[19:20], v[15:16]
	v_fma_f64 v[11:12], -v[11:12], v[17:18], v[19:20]
	v_div_fmas_f64 v[11:12], v[11:12], v[15:16], v[17:18]
	v_div_fixup_f64 v[11:12], v[11:12], v[0:1], v[9:10]
	v_fma_f64 v[11:12], v[11:12], v[11:12], 1.0
	v_cmp_gt_f64_e32 vcc_lo, 0x10000000, v[11:12]
	v_cndmask_b32_e64 v15, 0, 0x100, vcc_lo
	v_ldexp_f64 v[11:12], v[11:12], v15
	v_rsq_f64_e32 v[15:16], v[11:12]
	v_mul_f64 v[17:18], v[11:12], v[15:16]
	v_mul_f64 v[15:16], v[15:16], 0.5
	v_fma_f64 v[19:20], -v[15:16], v[17:18], 0.5
	v_fma_f64 v[17:18], v[17:18], v[19:20], v[17:18]
	v_fma_f64 v[15:16], v[15:16], v[19:20], v[15:16]
	v_fma_f64 v[19:20], -v[17:18], v[17:18], v[11:12]
	v_fma_f64 v[17:18], v[19:20], v[15:16], v[17:18]
	v_fma_f64 v[19:20], -v[17:18], v[17:18], v[11:12]
	v_fma_f64 v[15:16], v[19:20], v[15:16], v[17:18]
	v_cndmask_b32_e64 v17, 0, 0xffffff80, vcc_lo
	v_cmp_class_f64_e64 vcc_lo, v[11:12], 0x260
	v_ldexp_f64 v[15:16], v[15:16], v17
	v_cndmask_b32_e32 v12, v16, v12, vcc_lo
	v_cndmask_b32_e32 v11, v15, v11, vcc_lo
	v_mul_f64 v[11:12], v[0:1], v[11:12]
.LBB23_11:                              ;   in Loop: Header=BB23_5 Depth=1
	s_or_b32 exec_lo, exec_lo, s7
	s_mov_b32 s7, exec_lo
	v_cmpx_lt_f64_e32 s[4:5], v[11:12]
	s_cbranch_execz .LBB23_4
; %bb.12:                               ;   in Loop: Header=BB23_5 Depth=1
                                        ; implicit-def: $vgpr11_vgpr12
	s_and_saveexec_b32 s8, s0
	s_xor_b32 s0, exec_lo, s8
	s_cbranch_execz .LBB23_16
; %bb.13:                               ;   in Loop: Header=BB23_5 Depth=1
	v_mov_b32_e32 v11, 0
	v_mov_b32_e32 v12, 0
	s_mov_b32 s8, exec_lo
	v_cmpx_neq_f64_e32 0, v[2:3]
	s_cbranch_execz .LBB23_15
; %bb.14:                               ;   in Loop: Header=BB23_5 Depth=1
	v_div_scale_f64 v[2:3], null, v[9:10], v[9:10], v[0:1]
	v_div_scale_f64 v[17:18], vcc_lo, v[0:1], v[9:10], v[0:1]
	v_rcp_f64_e32 v[11:12], v[2:3]
	v_fma_f64 v[15:16], -v[2:3], v[11:12], 1.0
	v_fma_f64 v[11:12], v[11:12], v[15:16], v[11:12]
	v_fma_f64 v[15:16], -v[2:3], v[11:12], 1.0
	v_fma_f64 v[11:12], v[11:12], v[15:16], v[11:12]
	v_mul_f64 v[15:16], v[17:18], v[11:12]
	v_fma_f64 v[2:3], -v[2:3], v[15:16], v[17:18]
	v_div_fmas_f64 v[2:3], v[2:3], v[11:12], v[15:16]
	v_div_fixup_f64 v[0:1], v[2:3], v[9:10], v[0:1]
	v_fma_f64 v[0:1], v[0:1], v[0:1], 1.0
	v_cmp_gt_f64_e32 vcc_lo, 0x10000000, v[0:1]
	v_cndmask_b32_e64 v2, 0, 0x100, vcc_lo
	v_ldexp_f64 v[0:1], v[0:1], v2
	v_rsq_f64_e32 v[2:3], v[0:1]
	v_mul_f64 v[11:12], v[0:1], v[2:3]
	v_mul_f64 v[2:3], v[2:3], 0.5
	v_fma_f64 v[15:16], -v[2:3], v[11:12], 0.5
	v_fma_f64 v[11:12], v[11:12], v[15:16], v[11:12]
	v_fma_f64 v[2:3], v[2:3], v[15:16], v[2:3]
	v_fma_f64 v[15:16], -v[11:12], v[11:12], v[0:1]
	v_fma_f64 v[11:12], v[15:16], v[2:3], v[11:12]
	v_fma_f64 v[15:16], -v[11:12], v[11:12], v[0:1]
	v_fma_f64 v[2:3], v[15:16], v[2:3], v[11:12]
	v_cndmask_b32_e64 v11, 0, 0xffffff80, vcc_lo
	v_cmp_class_f64_e64 vcc_lo, v[0:1], 0x260
	v_ldexp_f64 v[2:3], v[2:3], v11
	v_cndmask_b32_e32 v1, v3, v1, vcc_lo
	v_cndmask_b32_e32 v0, v2, v0, vcc_lo
	v_mul_f64 v[11:12], v[9:10], v[0:1]
.LBB23_15:                              ;   in Loop: Header=BB23_5 Depth=1
	s_or_b32 exec_lo, exec_lo, s8
                                        ; implicit-def: $vgpr0_vgpr1
                                        ; implicit-def: $vgpr9_vgpr10
.LBB23_16:                              ;   in Loop: Header=BB23_5 Depth=1
	s_andn2_saveexec_b32 s0, s0
	s_cbranch_execz .LBB23_18
; %bb.17:                               ;   in Loop: Header=BB23_5 Depth=1
	v_div_scale_f64 v[2:3], null, v[0:1], v[0:1], v[9:10]
	v_div_scale_f64 v[17:18], vcc_lo, v[9:10], v[0:1], v[9:10]
	v_rcp_f64_e32 v[11:12], v[2:3]
	v_fma_f64 v[15:16], -v[2:3], v[11:12], 1.0
	v_fma_f64 v[11:12], v[11:12], v[15:16], v[11:12]
	v_fma_f64 v[15:16], -v[2:3], v[11:12], 1.0
	v_fma_f64 v[11:12], v[11:12], v[15:16], v[11:12]
	v_mul_f64 v[15:16], v[17:18], v[11:12]
	v_fma_f64 v[2:3], -v[2:3], v[15:16], v[17:18]
	v_div_fmas_f64 v[2:3], v[2:3], v[11:12], v[15:16]
	v_div_fixup_f64 v[2:3], v[2:3], v[0:1], v[9:10]
	v_fma_f64 v[2:3], v[2:3], v[2:3], 1.0
	v_cmp_gt_f64_e32 vcc_lo, 0x10000000, v[2:3]
	v_cndmask_b32_e64 v9, 0, 0x100, vcc_lo
	v_ldexp_f64 v[2:3], v[2:3], v9
	v_rsq_f64_e32 v[9:10], v[2:3]
	v_mul_f64 v[11:12], v[2:3], v[9:10]
	v_mul_f64 v[9:10], v[9:10], 0.5
	v_fma_f64 v[15:16], -v[9:10], v[11:12], 0.5
	v_fma_f64 v[11:12], v[11:12], v[15:16], v[11:12]
	v_fma_f64 v[9:10], v[9:10], v[15:16], v[9:10]
	v_fma_f64 v[15:16], -v[11:12], v[11:12], v[2:3]
	v_fma_f64 v[11:12], v[15:16], v[9:10], v[11:12]
	v_fma_f64 v[15:16], -v[11:12], v[11:12], v[2:3]
	v_fma_f64 v[9:10], v[15:16], v[9:10], v[11:12]
	v_cndmask_b32_e64 v11, 0, 0xffffff80, vcc_lo
	v_cmp_class_f64_e64 vcc_lo, v[2:3], 0x260
	v_ldexp_f64 v[9:10], v[9:10], v11
	v_cndmask_b32_e32 v3, v10, v3, vcc_lo
	v_cndmask_b32_e32 v2, v9, v2, vcc_lo
	v_mul_f64 v[11:12], v[0:1], v[2:3]
.LBB23_18:                              ;   in Loop: Header=BB23_5 Depth=1
	s_or_b32 exec_lo, exec_lo, s0
	s_mov_b32 s0, exec_lo
	v_cmpx_lt_f64_e32 0x38100000, v[11:12]
	s_cbranch_execz .LBB23_3
; %bb.19:                               ;   in Loop: Header=BB23_5 Depth=1
	v_add_nc_u32_e32 v13, 1, v13
	s_branch .LBB23_3
.LBB23_20:
	s_or_b32 exec_lo, exec_lo, s6
.LBB23_21:
	s_or_b32 exec_lo, exec_lo, s1
	v_mbcnt_lo_u32_b32 v0, -1, 0
	v_or_b32_e32 v1, 32, v0
	v_xor_b32_e32 v2, 16, v0
	v_xor_b32_e32 v3, 8, v0
	v_cmp_gt_i32_e32 vcc_lo, 32, v1
	v_cndmask_b32_e32 v1, v0, v1, vcc_lo
	v_cmp_gt_i32_e32 vcc_lo, 32, v2
	v_lshlrev_b32_e32 v1, 2, v1
	v_cndmask_b32_e32 v2, v0, v2, vcc_lo
	v_cmp_gt_i32_e32 vcc_lo, 32, v3
	ds_bpermute_b32 v1, v1, v13
	v_lshlrev_b32_e32 v2, 2, v2
	v_cndmask_b32_e32 v3, v0, v3, vcc_lo
	v_lshlrev_b32_e32 v3, 2, v3
	s_waitcnt lgkmcnt(0)
	v_add_nc_u32_e32 v1, v1, v13
	ds_bpermute_b32 v2, v2, v1
	s_waitcnt lgkmcnt(0)
	v_add_nc_u32_e32 v1, v2, v1
	ds_bpermute_b32 v2, v3, v1
	v_xor_b32_e32 v3, 4, v0
	v_cmp_gt_i32_e32 vcc_lo, 32, v3
	v_cndmask_b32_e32 v3, v0, v3, vcc_lo
	v_lshlrev_b32_e32 v3, 2, v3
	s_waitcnt lgkmcnt(0)
	v_add_nc_u32_e32 v1, v2, v1
	ds_bpermute_b32 v2, v3, v1
	v_xor_b32_e32 v3, 2, v0
	v_cmp_gt_i32_e32 vcc_lo, 32, v3
	v_cndmask_b32_e32 v3, v0, v3, vcc_lo
	v_lshlrev_b32_e32 v3, 2, v3
	;; [unrolled: 7-line block ×3, first 2 shown]
	s_waitcnt lgkmcnt(0)
	v_add_nc_u32_e32 v1, v2, v1
	ds_bpermute_b32 v0, v0, v1
	s_waitcnt lgkmcnt(0)
	v_add_nc_u32_e32 v0, v0, v1
	v_mov_b32_e32 v1, 0
	ds_bpermute_b32 v2, v1, v0 offset:252
	v_add_co_u32 v0, vcc_lo, s2, v4
	v_add_co_ci_u32_e64 v1, null, s3, v5, vcc_lo
	s_waitcnt lgkmcnt(0)
	global_store_dword v[0:1], v2, off
.LBB23_22:
	s_endpgm
	.section	.rodata,"a",@progbits
	.p2align	6, 0x0
	.amdhsa_kernel _ZN9rocsparseL19nnz_compress_kernelILi1024ELi16ELi64E21rocsparse_complex_numIdEEEvi21rocsparse_index_base_PKT2_PKiPiS4_
		.amdhsa_group_segment_fixed_size 0
		.amdhsa_private_segment_fixed_size 0
		.amdhsa_kernarg_size 48
		.amdhsa_user_sgpr_count 6
		.amdhsa_user_sgpr_private_segment_buffer 1
		.amdhsa_user_sgpr_dispatch_ptr 0
		.amdhsa_user_sgpr_queue_ptr 0
		.amdhsa_user_sgpr_kernarg_segment_ptr 1
		.amdhsa_user_sgpr_dispatch_id 0
		.amdhsa_user_sgpr_flat_scratch_init 0
		.amdhsa_user_sgpr_private_segment_size 0
		.amdhsa_wavefront_size32 1
		.amdhsa_uses_dynamic_stack 0
		.amdhsa_system_sgpr_private_segment_wavefront_offset 0
		.amdhsa_system_sgpr_workgroup_id_x 1
		.amdhsa_system_sgpr_workgroup_id_y 0
		.amdhsa_system_sgpr_workgroup_id_z 0
		.amdhsa_system_sgpr_workgroup_info 0
		.amdhsa_system_vgpr_workitem_id 0
		.amdhsa_next_free_vgpr 21
		.amdhsa_next_free_sgpr 10
		.amdhsa_reserve_vcc 1
		.amdhsa_reserve_flat_scratch 0
		.amdhsa_float_round_mode_32 0
		.amdhsa_float_round_mode_16_64 0
		.amdhsa_float_denorm_mode_32 3
		.amdhsa_float_denorm_mode_16_64 3
		.amdhsa_dx10_clamp 1
		.amdhsa_ieee_mode 1
		.amdhsa_fp16_overflow 0
		.amdhsa_workgroup_processor_mode 1
		.amdhsa_memory_ordered 1
		.amdhsa_forward_progress 1
		.amdhsa_shared_vgpr_count 0
		.amdhsa_exception_fp_ieee_invalid_op 0
		.amdhsa_exception_fp_denorm_src 0
		.amdhsa_exception_fp_ieee_div_zero 0
		.amdhsa_exception_fp_ieee_overflow 0
		.amdhsa_exception_fp_ieee_underflow 0
		.amdhsa_exception_fp_ieee_inexact 0
		.amdhsa_exception_int_div_zero 0
	.end_amdhsa_kernel
	.section	.text._ZN9rocsparseL19nnz_compress_kernelILi1024ELi16ELi64E21rocsparse_complex_numIdEEEvi21rocsparse_index_base_PKT2_PKiPiS4_,"axG",@progbits,_ZN9rocsparseL19nnz_compress_kernelILi1024ELi16ELi64E21rocsparse_complex_numIdEEEvi21rocsparse_index_base_PKT2_PKiPiS4_,comdat
.Lfunc_end23:
	.size	_ZN9rocsparseL19nnz_compress_kernelILi1024ELi16ELi64E21rocsparse_complex_numIdEEEvi21rocsparse_index_base_PKT2_PKiPiS4_, .Lfunc_end23-_ZN9rocsparseL19nnz_compress_kernelILi1024ELi16ELi64E21rocsparse_complex_numIdEEEvi21rocsparse_index_base_PKT2_PKiPiS4_
                                        ; -- End function
	.set _ZN9rocsparseL19nnz_compress_kernelILi1024ELi16ELi64E21rocsparse_complex_numIdEEEvi21rocsparse_index_base_PKT2_PKiPiS4_.num_vgpr, 21
	.set _ZN9rocsparseL19nnz_compress_kernelILi1024ELi16ELi64E21rocsparse_complex_numIdEEEvi21rocsparse_index_base_PKT2_PKiPiS4_.num_agpr, 0
	.set _ZN9rocsparseL19nnz_compress_kernelILi1024ELi16ELi64E21rocsparse_complex_numIdEEEvi21rocsparse_index_base_PKT2_PKiPiS4_.numbered_sgpr, 10
	.set _ZN9rocsparseL19nnz_compress_kernelILi1024ELi16ELi64E21rocsparse_complex_numIdEEEvi21rocsparse_index_base_PKT2_PKiPiS4_.num_named_barrier, 0
	.set _ZN9rocsparseL19nnz_compress_kernelILi1024ELi16ELi64E21rocsparse_complex_numIdEEEvi21rocsparse_index_base_PKT2_PKiPiS4_.private_seg_size, 0
	.set _ZN9rocsparseL19nnz_compress_kernelILi1024ELi16ELi64E21rocsparse_complex_numIdEEEvi21rocsparse_index_base_PKT2_PKiPiS4_.uses_vcc, 1
	.set _ZN9rocsparseL19nnz_compress_kernelILi1024ELi16ELi64E21rocsparse_complex_numIdEEEvi21rocsparse_index_base_PKT2_PKiPiS4_.uses_flat_scratch, 0
	.set _ZN9rocsparseL19nnz_compress_kernelILi1024ELi16ELi64E21rocsparse_complex_numIdEEEvi21rocsparse_index_base_PKT2_PKiPiS4_.has_dyn_sized_stack, 0
	.set _ZN9rocsparseL19nnz_compress_kernelILi1024ELi16ELi64E21rocsparse_complex_numIdEEEvi21rocsparse_index_base_PKT2_PKiPiS4_.has_recursion, 0
	.set _ZN9rocsparseL19nnz_compress_kernelILi1024ELi16ELi64E21rocsparse_complex_numIdEEEvi21rocsparse_index_base_PKT2_PKiPiS4_.has_indirect_call, 0
	.section	.AMDGPU.csdata,"",@progbits
; Kernel info:
; codeLenInByte = 1668
; TotalNumSgprs: 12
; NumVgprs: 21
; ScratchSize: 0
; MemoryBound: 0
; FloatMode: 240
; IeeeMode: 1
; LDSByteSize: 0 bytes/workgroup (compile time only)
; SGPRBlocks: 0
; VGPRBlocks: 2
; NumSGPRsForWavesPerEU: 12
; NumVGPRsForWavesPerEU: 21
; Occupancy: 16
; WaveLimiterHint : 0
; COMPUTE_PGM_RSRC2:SCRATCH_EN: 0
; COMPUTE_PGM_RSRC2:USER_SGPR: 6
; COMPUTE_PGM_RSRC2:TRAP_HANDLER: 0
; COMPUTE_PGM_RSRC2:TGID_X_EN: 1
; COMPUTE_PGM_RSRC2:TGID_Y_EN: 0
; COMPUTE_PGM_RSRC2:TGID_Z_EN: 0
; COMPUTE_PGM_RSRC2:TIDIG_COMP_CNT: 0
	.section	.AMDGPU.gpr_maximums,"",@progbits
	.set amdgpu.max_num_vgpr, 0
	.set amdgpu.max_num_agpr, 0
	.set amdgpu.max_num_sgpr, 0
	.section	.AMDGPU.csdata,"",@progbits
	.type	__hip_cuid_1f87b2202839c7af,@object ; @__hip_cuid_1f87b2202839c7af
	.section	.bss,"aw",@nobits
	.globl	__hip_cuid_1f87b2202839c7af
__hip_cuid_1f87b2202839c7af:
	.byte	0                               ; 0x0
	.size	__hip_cuid_1f87b2202839c7af, 1

	.ident	"AMD clang version 22.0.0git (https://github.com/RadeonOpenCompute/llvm-project roc-7.2.4 26084 f58b06dce1f9c15707c5f808fd002e18c2accf7e)"
	.section	".note.GNU-stack","",@progbits
	.addrsig
	.addrsig_sym __hip_cuid_1f87b2202839c7af
	.amdgpu_metadata
---
amdhsa.kernels:
  - .args:
      - .offset:         0
        .size:           4
        .value_kind:     by_value
      - .offset:         4
        .size:           4
        .value_kind:     by_value
      - .actual_access:  read_only
        .address_space:  global
        .offset:         8
        .size:           8
        .value_kind:     global_buffer
      - .actual_access:  read_only
        .address_space:  global
        .offset:         16
        .size:           8
        .value_kind:     global_buffer
      - .actual_access:  write_only
        .address_space:  global
        .offset:         24
        .size:           8
        .value_kind:     global_buffer
      - .offset:         32
        .size:           4
        .value_kind:     by_value
    .group_segment_fixed_size: 0
    .kernarg_segment_align: 8
    .kernarg_segment_size: 36
    .language:       OpenCL C
    .language_version:
      - 2
      - 0
    .max_flat_workgroup_size: 1024
    .name:           _ZN9rocsparseL19nnz_compress_kernelILi1024ELi512ELi2EfEEvi21rocsparse_index_base_PKT2_PKiPiS2_
    .private_segment_fixed_size: 0
    .sgpr_count:     12
    .sgpr_spill_count: 0
    .symbol:         _ZN9rocsparseL19nnz_compress_kernelILi1024ELi512ELi2EfEEvi21rocsparse_index_base_PKT2_PKiPiS2_.kd
    .uniform_work_group_size: 1
    .uses_dynamic_stack: false
    .vgpr_count:     8
    .vgpr_spill_count: 0
    .wavefront_size: 32
    .workgroup_processor_mode: 1
  - .args:
      - .offset:         0
        .size:           4
        .value_kind:     by_value
      - .offset:         4
        .size:           4
        .value_kind:     by_value
      - .actual_access:  read_only
        .address_space:  global
        .offset:         8
        .size:           8
        .value_kind:     global_buffer
      - .actual_access:  read_only
        .address_space:  global
        .offset:         16
        .size:           8
        .value_kind:     global_buffer
      - .actual_access:  write_only
        .address_space:  global
        .offset:         24
        .size:           8
        .value_kind:     global_buffer
      - .offset:         32
        .size:           4
        .value_kind:     by_value
    .group_segment_fixed_size: 0
    .kernarg_segment_align: 8
    .kernarg_segment_size: 36
    .language:       OpenCL C
    .language_version:
      - 2
      - 0
    .max_flat_workgroup_size: 1024
    .name:           _ZN9rocsparseL19nnz_compress_kernelILi1024ELi256ELi4EfEEvi21rocsparse_index_base_PKT2_PKiPiS2_
    .private_segment_fixed_size: 0
    .sgpr_count:     12
    .sgpr_spill_count: 0
    .symbol:         _ZN9rocsparseL19nnz_compress_kernelILi1024ELi256ELi4EfEEvi21rocsparse_index_base_PKT2_PKiPiS2_.kd
    .uniform_work_group_size: 1
    .uses_dynamic_stack: false
    .vgpr_count:     8
    .vgpr_spill_count: 0
    .wavefront_size: 32
    .workgroup_processor_mode: 1
  - .args:
      - .offset:         0
        .size:           4
        .value_kind:     by_value
      - .offset:         4
        .size:           4
        .value_kind:     by_value
      - .actual_access:  read_only
        .address_space:  global
        .offset:         8
        .size:           8
        .value_kind:     global_buffer
      - .actual_access:  read_only
        .address_space:  global
        .offset:         16
        .size:           8
        .value_kind:     global_buffer
      - .actual_access:  write_only
        .address_space:  global
        .offset:         24
        .size:           8
        .value_kind:     global_buffer
      - .offset:         32
        .size:           4
        .value_kind:     by_value
    .group_segment_fixed_size: 0
    .kernarg_segment_align: 8
    .kernarg_segment_size: 36
    .language:       OpenCL C
    .language_version:
      - 2
      - 0
    .max_flat_workgroup_size: 1024
    .name:           _ZN9rocsparseL19nnz_compress_kernelILi1024ELi128ELi8EfEEvi21rocsparse_index_base_PKT2_PKiPiS2_
    .private_segment_fixed_size: 0
    .sgpr_count:     12
    .sgpr_spill_count: 0
    .symbol:         _ZN9rocsparseL19nnz_compress_kernelILi1024ELi128ELi8EfEEvi21rocsparse_index_base_PKT2_PKiPiS2_.kd
    .uniform_work_group_size: 1
    .uses_dynamic_stack: false
    .vgpr_count:     8
    .vgpr_spill_count: 0
    .wavefront_size: 32
    .workgroup_processor_mode: 1
  - .args:
      - .offset:         0
        .size:           4
        .value_kind:     by_value
      - .offset:         4
        .size:           4
        .value_kind:     by_value
      - .actual_access:  read_only
        .address_space:  global
        .offset:         8
        .size:           8
        .value_kind:     global_buffer
      - .actual_access:  read_only
        .address_space:  global
        .offset:         16
        .size:           8
        .value_kind:     global_buffer
      - .actual_access:  write_only
        .address_space:  global
        .offset:         24
        .size:           8
        .value_kind:     global_buffer
      - .offset:         32
        .size:           4
        .value_kind:     by_value
    .group_segment_fixed_size: 0
    .kernarg_segment_align: 8
    .kernarg_segment_size: 36
    .language:       OpenCL C
    .language_version:
      - 2
      - 0
    .max_flat_workgroup_size: 1024
    .name:           _ZN9rocsparseL19nnz_compress_kernelILi1024ELi64ELi16EfEEvi21rocsparse_index_base_PKT2_PKiPiS2_
    .private_segment_fixed_size: 0
    .sgpr_count:     12
    .sgpr_spill_count: 0
    .symbol:         _ZN9rocsparseL19nnz_compress_kernelILi1024ELi64ELi16EfEEvi21rocsparse_index_base_PKT2_PKiPiS2_.kd
    .uniform_work_group_size: 1
    .uses_dynamic_stack: false
    .vgpr_count:     8
    .vgpr_spill_count: 0
    .wavefront_size: 32
    .workgroup_processor_mode: 1
  - .args:
      - .offset:         0
        .size:           4
        .value_kind:     by_value
      - .offset:         4
        .size:           4
        .value_kind:     by_value
      - .actual_access:  read_only
        .address_space:  global
        .offset:         8
        .size:           8
        .value_kind:     global_buffer
      - .actual_access:  read_only
        .address_space:  global
        .offset:         16
        .size:           8
        .value_kind:     global_buffer
      - .actual_access:  write_only
        .address_space:  global
        .offset:         24
        .size:           8
        .value_kind:     global_buffer
      - .offset:         32
        .size:           4
        .value_kind:     by_value
    .group_segment_fixed_size: 0
    .kernarg_segment_align: 8
    .kernarg_segment_size: 36
    .language:       OpenCL C
    .language_version:
      - 2
      - 0
    .max_flat_workgroup_size: 1024
    .name:           _ZN9rocsparseL19nnz_compress_kernelILi1024ELi32ELi32EfEEvi21rocsparse_index_base_PKT2_PKiPiS2_
    .private_segment_fixed_size: 0
    .sgpr_count:     12
    .sgpr_spill_count: 0
    .symbol:         _ZN9rocsparseL19nnz_compress_kernelILi1024ELi32ELi32EfEEvi21rocsparse_index_base_PKT2_PKiPiS2_.kd
    .uniform_work_group_size: 1
    .uses_dynamic_stack: false
    .vgpr_count:     8
    .vgpr_spill_count: 0
    .wavefront_size: 32
    .workgroup_processor_mode: 1
  - .args:
      - .offset:         0
        .size:           4
        .value_kind:     by_value
      - .offset:         4
        .size:           4
        .value_kind:     by_value
      - .actual_access:  read_only
        .address_space:  global
        .offset:         8
        .size:           8
        .value_kind:     global_buffer
      - .actual_access:  read_only
        .address_space:  global
        .offset:         16
        .size:           8
        .value_kind:     global_buffer
      - .actual_access:  write_only
        .address_space:  global
        .offset:         24
        .size:           8
        .value_kind:     global_buffer
      - .offset:         32
        .size:           4
        .value_kind:     by_value
    .group_segment_fixed_size: 0
    .kernarg_segment_align: 8
    .kernarg_segment_size: 36
    .language:       OpenCL C
    .language_version:
      - 2
      - 0
    .max_flat_workgroup_size: 1024
    .name:           _ZN9rocsparseL19nnz_compress_kernelILi1024ELi16ELi64EfEEvi21rocsparse_index_base_PKT2_PKiPiS2_
    .private_segment_fixed_size: 0
    .sgpr_count:     12
    .sgpr_spill_count: 0
    .symbol:         _ZN9rocsparseL19nnz_compress_kernelILi1024ELi16ELi64EfEEvi21rocsparse_index_base_PKT2_PKiPiS2_.kd
    .uniform_work_group_size: 1
    .uses_dynamic_stack: false
    .vgpr_count:     8
    .vgpr_spill_count: 0
    .wavefront_size: 32
    .workgroup_processor_mode: 1
  - .args:
      - .offset:         0
        .size:           4
        .value_kind:     by_value
      - .offset:         4
        .size:           4
        .value_kind:     by_value
      - .actual_access:  read_only
        .address_space:  global
        .offset:         8
        .size:           8
        .value_kind:     global_buffer
      - .actual_access:  read_only
        .address_space:  global
        .offset:         16
        .size:           8
        .value_kind:     global_buffer
      - .actual_access:  write_only
        .address_space:  global
        .offset:         24
        .size:           8
        .value_kind:     global_buffer
      - .offset:         32
        .size:           8
        .value_kind:     by_value
    .group_segment_fixed_size: 0
    .kernarg_segment_align: 8
    .kernarg_segment_size: 40
    .language:       OpenCL C
    .language_version:
      - 2
      - 0
    .max_flat_workgroup_size: 1024
    .name:           _ZN9rocsparseL19nnz_compress_kernelILi1024ELi512ELi2EdEEvi21rocsparse_index_base_PKT2_PKiPiS2_
    .private_segment_fixed_size: 0
    .sgpr_count:     12
    .sgpr_spill_count: 0
    .symbol:         _ZN9rocsparseL19nnz_compress_kernelILi1024ELi512ELi2EdEEvi21rocsparse_index_base_PKT2_PKiPiS2_.kd
    .uniform_work_group_size: 1
    .uses_dynamic_stack: false
    .vgpr_count:     10
    .vgpr_spill_count: 0
    .wavefront_size: 32
    .workgroup_processor_mode: 1
  - .args:
      - .offset:         0
        .size:           4
        .value_kind:     by_value
      - .offset:         4
        .size:           4
        .value_kind:     by_value
      - .actual_access:  read_only
        .address_space:  global
        .offset:         8
        .size:           8
        .value_kind:     global_buffer
      - .actual_access:  read_only
        .address_space:  global
        .offset:         16
        .size:           8
        .value_kind:     global_buffer
      - .actual_access:  write_only
        .address_space:  global
        .offset:         24
        .size:           8
        .value_kind:     global_buffer
      - .offset:         32
        .size:           8
        .value_kind:     by_value
    .group_segment_fixed_size: 0
    .kernarg_segment_align: 8
    .kernarg_segment_size: 40
    .language:       OpenCL C
    .language_version:
      - 2
      - 0
    .max_flat_workgroup_size: 1024
    .name:           _ZN9rocsparseL19nnz_compress_kernelILi1024ELi256ELi4EdEEvi21rocsparse_index_base_PKT2_PKiPiS2_
    .private_segment_fixed_size: 0
    .sgpr_count:     12
    .sgpr_spill_count: 0
    .symbol:         _ZN9rocsparseL19nnz_compress_kernelILi1024ELi256ELi4EdEEvi21rocsparse_index_base_PKT2_PKiPiS2_.kd
    .uniform_work_group_size: 1
    .uses_dynamic_stack: false
    .vgpr_count:     10
    .vgpr_spill_count: 0
    .wavefront_size: 32
    .workgroup_processor_mode: 1
  - .args:
      - .offset:         0
        .size:           4
        .value_kind:     by_value
      - .offset:         4
        .size:           4
        .value_kind:     by_value
      - .actual_access:  read_only
        .address_space:  global
        .offset:         8
        .size:           8
        .value_kind:     global_buffer
      - .actual_access:  read_only
        .address_space:  global
        .offset:         16
        .size:           8
        .value_kind:     global_buffer
      - .actual_access:  write_only
        .address_space:  global
        .offset:         24
        .size:           8
        .value_kind:     global_buffer
      - .offset:         32
        .size:           8
        .value_kind:     by_value
    .group_segment_fixed_size: 0
    .kernarg_segment_align: 8
    .kernarg_segment_size: 40
    .language:       OpenCL C
    .language_version:
      - 2
      - 0
    .max_flat_workgroup_size: 1024
    .name:           _ZN9rocsparseL19nnz_compress_kernelILi1024ELi128ELi8EdEEvi21rocsparse_index_base_PKT2_PKiPiS2_
    .private_segment_fixed_size: 0
    .sgpr_count:     12
    .sgpr_spill_count: 0
    .symbol:         _ZN9rocsparseL19nnz_compress_kernelILi1024ELi128ELi8EdEEvi21rocsparse_index_base_PKT2_PKiPiS2_.kd
    .uniform_work_group_size: 1
    .uses_dynamic_stack: false
    .vgpr_count:     10
    .vgpr_spill_count: 0
    .wavefront_size: 32
    .workgroup_processor_mode: 1
  - .args:
      - .offset:         0
        .size:           4
        .value_kind:     by_value
      - .offset:         4
        .size:           4
        .value_kind:     by_value
      - .actual_access:  read_only
        .address_space:  global
        .offset:         8
        .size:           8
        .value_kind:     global_buffer
      - .actual_access:  read_only
        .address_space:  global
        .offset:         16
        .size:           8
        .value_kind:     global_buffer
      - .actual_access:  write_only
        .address_space:  global
        .offset:         24
        .size:           8
        .value_kind:     global_buffer
      - .offset:         32
        .size:           8
        .value_kind:     by_value
    .group_segment_fixed_size: 0
    .kernarg_segment_align: 8
    .kernarg_segment_size: 40
    .language:       OpenCL C
    .language_version:
      - 2
      - 0
    .max_flat_workgroup_size: 1024
    .name:           _ZN9rocsparseL19nnz_compress_kernelILi1024ELi64ELi16EdEEvi21rocsparse_index_base_PKT2_PKiPiS2_
    .private_segment_fixed_size: 0
    .sgpr_count:     12
    .sgpr_spill_count: 0
    .symbol:         _ZN9rocsparseL19nnz_compress_kernelILi1024ELi64ELi16EdEEvi21rocsparse_index_base_PKT2_PKiPiS2_.kd
    .uniform_work_group_size: 1
    .uses_dynamic_stack: false
    .vgpr_count:     10
    .vgpr_spill_count: 0
    .wavefront_size: 32
    .workgroup_processor_mode: 1
  - .args:
      - .offset:         0
        .size:           4
        .value_kind:     by_value
      - .offset:         4
        .size:           4
        .value_kind:     by_value
      - .actual_access:  read_only
        .address_space:  global
        .offset:         8
        .size:           8
        .value_kind:     global_buffer
      - .actual_access:  read_only
        .address_space:  global
        .offset:         16
        .size:           8
        .value_kind:     global_buffer
      - .actual_access:  write_only
        .address_space:  global
        .offset:         24
        .size:           8
        .value_kind:     global_buffer
      - .offset:         32
        .size:           8
        .value_kind:     by_value
    .group_segment_fixed_size: 0
    .kernarg_segment_align: 8
    .kernarg_segment_size: 40
    .language:       OpenCL C
    .language_version:
      - 2
      - 0
    .max_flat_workgroup_size: 1024
    .name:           _ZN9rocsparseL19nnz_compress_kernelILi1024ELi32ELi32EdEEvi21rocsparse_index_base_PKT2_PKiPiS2_
    .private_segment_fixed_size: 0
    .sgpr_count:     12
    .sgpr_spill_count: 0
    .symbol:         _ZN9rocsparseL19nnz_compress_kernelILi1024ELi32ELi32EdEEvi21rocsparse_index_base_PKT2_PKiPiS2_.kd
    .uniform_work_group_size: 1
    .uses_dynamic_stack: false
    .vgpr_count:     10
    .vgpr_spill_count: 0
    .wavefront_size: 32
    .workgroup_processor_mode: 1
  - .args:
      - .offset:         0
        .size:           4
        .value_kind:     by_value
      - .offset:         4
        .size:           4
        .value_kind:     by_value
      - .actual_access:  read_only
        .address_space:  global
        .offset:         8
        .size:           8
        .value_kind:     global_buffer
      - .actual_access:  read_only
        .address_space:  global
        .offset:         16
        .size:           8
        .value_kind:     global_buffer
      - .actual_access:  write_only
        .address_space:  global
        .offset:         24
        .size:           8
        .value_kind:     global_buffer
      - .offset:         32
        .size:           8
        .value_kind:     by_value
    .group_segment_fixed_size: 0
    .kernarg_segment_align: 8
    .kernarg_segment_size: 40
    .language:       OpenCL C
    .language_version:
      - 2
      - 0
    .max_flat_workgroup_size: 1024
    .name:           _ZN9rocsparseL19nnz_compress_kernelILi1024ELi16ELi64EdEEvi21rocsparse_index_base_PKT2_PKiPiS2_
    .private_segment_fixed_size: 0
    .sgpr_count:     12
    .sgpr_spill_count: 0
    .symbol:         _ZN9rocsparseL19nnz_compress_kernelILi1024ELi16ELi64EdEEvi21rocsparse_index_base_PKT2_PKiPiS2_.kd
    .uniform_work_group_size: 1
    .uses_dynamic_stack: false
    .vgpr_count:     10
    .vgpr_spill_count: 0
    .wavefront_size: 32
    .workgroup_processor_mode: 1
  - .args:
      - .offset:         0
        .size:           4
        .value_kind:     by_value
      - .offset:         4
        .size:           4
        .value_kind:     by_value
      - .actual_access:  read_only
        .address_space:  global
        .offset:         8
        .size:           8
        .value_kind:     global_buffer
      - .actual_access:  read_only
        .address_space:  global
        .offset:         16
        .size:           8
        .value_kind:     global_buffer
      - .actual_access:  write_only
        .address_space:  global
        .offset:         24
        .size:           8
        .value_kind:     global_buffer
      - .offset:         32
        .size:           8
        .value_kind:     by_value
    .group_segment_fixed_size: 0
    .kernarg_segment_align: 8
    .kernarg_segment_size: 40
    .language:       OpenCL C
    .language_version:
      - 2
      - 0
    .max_flat_workgroup_size: 1024
    .name:           _ZN9rocsparseL19nnz_compress_kernelILi1024ELi512ELi2E21rocsparse_complex_numIfEEEvi21rocsparse_index_base_PKT2_PKiPiS4_
    .private_segment_fixed_size: 0
    .sgpr_count:     12
    .sgpr_spill_count: 0
    .symbol:         _ZN9rocsparseL19nnz_compress_kernelILi1024ELi512ELi2E21rocsparse_complex_numIfEEEvi21rocsparse_index_base_PKT2_PKiPiS4_.kd
    .uniform_work_group_size: 1
    .uses_dynamic_stack: false
    .vgpr_count:     16
    .vgpr_spill_count: 0
    .wavefront_size: 32
    .workgroup_processor_mode: 1
  - .args:
      - .offset:         0
        .size:           4
        .value_kind:     by_value
      - .offset:         4
        .size:           4
        .value_kind:     by_value
      - .actual_access:  read_only
        .address_space:  global
        .offset:         8
        .size:           8
        .value_kind:     global_buffer
      - .actual_access:  read_only
        .address_space:  global
        .offset:         16
        .size:           8
        .value_kind:     global_buffer
      - .actual_access:  write_only
        .address_space:  global
        .offset:         24
        .size:           8
        .value_kind:     global_buffer
      - .offset:         32
        .size:           8
        .value_kind:     by_value
    .group_segment_fixed_size: 0
    .kernarg_segment_align: 8
    .kernarg_segment_size: 40
    .language:       OpenCL C
    .language_version:
      - 2
      - 0
    .max_flat_workgroup_size: 1024
    .name:           _ZN9rocsparseL19nnz_compress_kernelILi1024ELi256ELi4E21rocsparse_complex_numIfEEEvi21rocsparse_index_base_PKT2_PKiPiS4_
    .private_segment_fixed_size: 0
    .sgpr_count:     12
    .sgpr_spill_count: 0
    .symbol:         _ZN9rocsparseL19nnz_compress_kernelILi1024ELi256ELi4E21rocsparse_complex_numIfEEEvi21rocsparse_index_base_PKT2_PKiPiS4_.kd
    .uniform_work_group_size: 1
    .uses_dynamic_stack: false
    .vgpr_count:     16
    .vgpr_spill_count: 0
    .wavefront_size: 32
    .workgroup_processor_mode: 1
  - .args:
      - .offset:         0
        .size:           4
        .value_kind:     by_value
      - .offset:         4
        .size:           4
        .value_kind:     by_value
      - .actual_access:  read_only
        .address_space:  global
        .offset:         8
        .size:           8
        .value_kind:     global_buffer
      - .actual_access:  read_only
        .address_space:  global
        .offset:         16
        .size:           8
        .value_kind:     global_buffer
      - .actual_access:  write_only
        .address_space:  global
        .offset:         24
        .size:           8
        .value_kind:     global_buffer
      - .offset:         32
        .size:           8
        .value_kind:     by_value
    .group_segment_fixed_size: 0
    .kernarg_segment_align: 8
    .kernarg_segment_size: 40
    .language:       OpenCL C
    .language_version:
      - 2
      - 0
    .max_flat_workgroup_size: 1024
    .name:           _ZN9rocsparseL19nnz_compress_kernelILi1024ELi128ELi8E21rocsparse_complex_numIfEEEvi21rocsparse_index_base_PKT2_PKiPiS4_
    .private_segment_fixed_size: 0
    .sgpr_count:     12
    .sgpr_spill_count: 0
    .symbol:         _ZN9rocsparseL19nnz_compress_kernelILi1024ELi128ELi8E21rocsparse_complex_numIfEEEvi21rocsparse_index_base_PKT2_PKiPiS4_.kd
    .uniform_work_group_size: 1
    .uses_dynamic_stack: false
    .vgpr_count:     16
    .vgpr_spill_count: 0
    .wavefront_size: 32
    .workgroup_processor_mode: 1
  - .args:
      - .offset:         0
        .size:           4
        .value_kind:     by_value
      - .offset:         4
        .size:           4
        .value_kind:     by_value
      - .actual_access:  read_only
        .address_space:  global
        .offset:         8
        .size:           8
        .value_kind:     global_buffer
      - .actual_access:  read_only
        .address_space:  global
        .offset:         16
        .size:           8
        .value_kind:     global_buffer
      - .actual_access:  write_only
        .address_space:  global
        .offset:         24
        .size:           8
        .value_kind:     global_buffer
      - .offset:         32
        .size:           8
        .value_kind:     by_value
    .group_segment_fixed_size: 0
    .kernarg_segment_align: 8
    .kernarg_segment_size: 40
    .language:       OpenCL C
    .language_version:
      - 2
      - 0
    .max_flat_workgroup_size: 1024
    .name:           _ZN9rocsparseL19nnz_compress_kernelILi1024ELi64ELi16E21rocsparse_complex_numIfEEEvi21rocsparse_index_base_PKT2_PKiPiS4_
    .private_segment_fixed_size: 0
    .sgpr_count:     12
    .sgpr_spill_count: 0
    .symbol:         _ZN9rocsparseL19nnz_compress_kernelILi1024ELi64ELi16E21rocsparse_complex_numIfEEEvi21rocsparse_index_base_PKT2_PKiPiS4_.kd
    .uniform_work_group_size: 1
    .uses_dynamic_stack: false
    .vgpr_count:     16
    .vgpr_spill_count: 0
    .wavefront_size: 32
    .workgroup_processor_mode: 1
  - .args:
      - .offset:         0
        .size:           4
        .value_kind:     by_value
      - .offset:         4
        .size:           4
        .value_kind:     by_value
      - .actual_access:  read_only
        .address_space:  global
        .offset:         8
        .size:           8
        .value_kind:     global_buffer
      - .actual_access:  read_only
        .address_space:  global
        .offset:         16
        .size:           8
        .value_kind:     global_buffer
      - .actual_access:  write_only
        .address_space:  global
        .offset:         24
        .size:           8
        .value_kind:     global_buffer
      - .offset:         32
        .size:           8
        .value_kind:     by_value
    .group_segment_fixed_size: 0
    .kernarg_segment_align: 8
    .kernarg_segment_size: 40
    .language:       OpenCL C
    .language_version:
      - 2
      - 0
    .max_flat_workgroup_size: 1024
    .name:           _ZN9rocsparseL19nnz_compress_kernelILi1024ELi32ELi32E21rocsparse_complex_numIfEEEvi21rocsparse_index_base_PKT2_PKiPiS4_
    .private_segment_fixed_size: 0
    .sgpr_count:     12
    .sgpr_spill_count: 0
    .symbol:         _ZN9rocsparseL19nnz_compress_kernelILi1024ELi32ELi32E21rocsparse_complex_numIfEEEvi21rocsparse_index_base_PKT2_PKiPiS4_.kd
    .uniform_work_group_size: 1
    .uses_dynamic_stack: false
    .vgpr_count:     16
    .vgpr_spill_count: 0
    .wavefront_size: 32
    .workgroup_processor_mode: 1
  - .args:
      - .offset:         0
        .size:           4
        .value_kind:     by_value
      - .offset:         4
        .size:           4
        .value_kind:     by_value
      - .actual_access:  read_only
        .address_space:  global
        .offset:         8
        .size:           8
        .value_kind:     global_buffer
      - .actual_access:  read_only
        .address_space:  global
        .offset:         16
        .size:           8
        .value_kind:     global_buffer
      - .actual_access:  write_only
        .address_space:  global
        .offset:         24
        .size:           8
        .value_kind:     global_buffer
      - .offset:         32
        .size:           8
        .value_kind:     by_value
    .group_segment_fixed_size: 0
    .kernarg_segment_align: 8
    .kernarg_segment_size: 40
    .language:       OpenCL C
    .language_version:
      - 2
      - 0
    .max_flat_workgroup_size: 1024
    .name:           _ZN9rocsparseL19nnz_compress_kernelILi1024ELi16ELi64E21rocsparse_complex_numIfEEEvi21rocsparse_index_base_PKT2_PKiPiS4_
    .private_segment_fixed_size: 0
    .sgpr_count:     12
    .sgpr_spill_count: 0
    .symbol:         _ZN9rocsparseL19nnz_compress_kernelILi1024ELi16ELi64E21rocsparse_complex_numIfEEEvi21rocsparse_index_base_PKT2_PKiPiS4_.kd
    .uniform_work_group_size: 1
    .uses_dynamic_stack: false
    .vgpr_count:     16
    .vgpr_spill_count: 0
    .wavefront_size: 32
    .workgroup_processor_mode: 1
  - .args:
      - .offset:         0
        .size:           4
        .value_kind:     by_value
      - .offset:         4
        .size:           4
        .value_kind:     by_value
      - .actual_access:  read_only
        .address_space:  global
        .offset:         8
        .size:           8
        .value_kind:     global_buffer
      - .actual_access:  read_only
        .address_space:  global
        .offset:         16
        .size:           8
        .value_kind:     global_buffer
      - .actual_access:  write_only
        .address_space:  global
        .offset:         24
        .size:           8
        .value_kind:     global_buffer
      - .offset:         32
        .size:           16
        .value_kind:     by_value
    .group_segment_fixed_size: 0
    .kernarg_segment_align: 8
    .kernarg_segment_size: 48
    .language:       OpenCL C
    .language_version:
      - 2
      - 0
    .max_flat_workgroup_size: 1024
    .name:           _ZN9rocsparseL19nnz_compress_kernelILi1024ELi512ELi2E21rocsparse_complex_numIdEEEvi21rocsparse_index_base_PKT2_PKiPiS4_
    .private_segment_fixed_size: 0
    .sgpr_count:     12
    .sgpr_spill_count: 0
    .symbol:         _ZN9rocsparseL19nnz_compress_kernelILi1024ELi512ELi2E21rocsparse_complex_numIdEEEvi21rocsparse_index_base_PKT2_PKiPiS4_.kd
    .uniform_work_group_size: 1
    .uses_dynamic_stack: false
    .vgpr_count:     21
    .vgpr_spill_count: 0
    .wavefront_size: 32
    .workgroup_processor_mode: 1
  - .args:
      - .offset:         0
        .size:           4
        .value_kind:     by_value
      - .offset:         4
        .size:           4
        .value_kind:     by_value
      - .actual_access:  read_only
        .address_space:  global
        .offset:         8
        .size:           8
        .value_kind:     global_buffer
      - .actual_access:  read_only
        .address_space:  global
        .offset:         16
        .size:           8
        .value_kind:     global_buffer
      - .actual_access:  write_only
        .address_space:  global
        .offset:         24
        .size:           8
        .value_kind:     global_buffer
      - .offset:         32
        .size:           16
        .value_kind:     by_value
    .group_segment_fixed_size: 0
    .kernarg_segment_align: 8
    .kernarg_segment_size: 48
    .language:       OpenCL C
    .language_version:
      - 2
      - 0
    .max_flat_workgroup_size: 1024
    .name:           _ZN9rocsparseL19nnz_compress_kernelILi1024ELi256ELi4E21rocsparse_complex_numIdEEEvi21rocsparse_index_base_PKT2_PKiPiS4_
    .private_segment_fixed_size: 0
    .sgpr_count:     12
    .sgpr_spill_count: 0
    .symbol:         _ZN9rocsparseL19nnz_compress_kernelILi1024ELi256ELi4E21rocsparse_complex_numIdEEEvi21rocsparse_index_base_PKT2_PKiPiS4_.kd
    .uniform_work_group_size: 1
    .uses_dynamic_stack: false
    .vgpr_count:     21
    .vgpr_spill_count: 0
    .wavefront_size: 32
    .workgroup_processor_mode: 1
  - .args:
      - .offset:         0
        .size:           4
        .value_kind:     by_value
      - .offset:         4
        .size:           4
        .value_kind:     by_value
      - .actual_access:  read_only
        .address_space:  global
        .offset:         8
        .size:           8
        .value_kind:     global_buffer
      - .actual_access:  read_only
        .address_space:  global
        .offset:         16
        .size:           8
        .value_kind:     global_buffer
      - .actual_access:  write_only
        .address_space:  global
        .offset:         24
        .size:           8
        .value_kind:     global_buffer
      - .offset:         32
        .size:           16
        .value_kind:     by_value
    .group_segment_fixed_size: 0
    .kernarg_segment_align: 8
    .kernarg_segment_size: 48
    .language:       OpenCL C
    .language_version:
      - 2
      - 0
    .max_flat_workgroup_size: 1024
    .name:           _ZN9rocsparseL19nnz_compress_kernelILi1024ELi128ELi8E21rocsparse_complex_numIdEEEvi21rocsparse_index_base_PKT2_PKiPiS4_
    .private_segment_fixed_size: 0
    .sgpr_count:     12
    .sgpr_spill_count: 0
    .symbol:         _ZN9rocsparseL19nnz_compress_kernelILi1024ELi128ELi8E21rocsparse_complex_numIdEEEvi21rocsparse_index_base_PKT2_PKiPiS4_.kd
    .uniform_work_group_size: 1
    .uses_dynamic_stack: false
    .vgpr_count:     21
    .vgpr_spill_count: 0
    .wavefront_size: 32
    .workgroup_processor_mode: 1
  - .args:
      - .offset:         0
        .size:           4
        .value_kind:     by_value
      - .offset:         4
        .size:           4
        .value_kind:     by_value
      - .actual_access:  read_only
        .address_space:  global
        .offset:         8
        .size:           8
        .value_kind:     global_buffer
      - .actual_access:  read_only
        .address_space:  global
        .offset:         16
        .size:           8
        .value_kind:     global_buffer
      - .actual_access:  write_only
        .address_space:  global
        .offset:         24
        .size:           8
        .value_kind:     global_buffer
      - .offset:         32
        .size:           16
        .value_kind:     by_value
    .group_segment_fixed_size: 0
    .kernarg_segment_align: 8
    .kernarg_segment_size: 48
    .language:       OpenCL C
    .language_version:
      - 2
      - 0
    .max_flat_workgroup_size: 1024
    .name:           _ZN9rocsparseL19nnz_compress_kernelILi1024ELi64ELi16E21rocsparse_complex_numIdEEEvi21rocsparse_index_base_PKT2_PKiPiS4_
    .private_segment_fixed_size: 0
    .sgpr_count:     12
    .sgpr_spill_count: 0
    .symbol:         _ZN9rocsparseL19nnz_compress_kernelILi1024ELi64ELi16E21rocsparse_complex_numIdEEEvi21rocsparse_index_base_PKT2_PKiPiS4_.kd
    .uniform_work_group_size: 1
    .uses_dynamic_stack: false
    .vgpr_count:     21
    .vgpr_spill_count: 0
    .wavefront_size: 32
    .workgroup_processor_mode: 1
  - .args:
      - .offset:         0
        .size:           4
        .value_kind:     by_value
      - .offset:         4
        .size:           4
        .value_kind:     by_value
      - .actual_access:  read_only
        .address_space:  global
        .offset:         8
        .size:           8
        .value_kind:     global_buffer
      - .actual_access:  read_only
        .address_space:  global
        .offset:         16
        .size:           8
        .value_kind:     global_buffer
      - .actual_access:  write_only
        .address_space:  global
        .offset:         24
        .size:           8
        .value_kind:     global_buffer
      - .offset:         32
        .size:           16
        .value_kind:     by_value
    .group_segment_fixed_size: 0
    .kernarg_segment_align: 8
    .kernarg_segment_size: 48
    .language:       OpenCL C
    .language_version:
      - 2
      - 0
    .max_flat_workgroup_size: 1024
    .name:           _ZN9rocsparseL19nnz_compress_kernelILi1024ELi32ELi32E21rocsparse_complex_numIdEEEvi21rocsparse_index_base_PKT2_PKiPiS4_
    .private_segment_fixed_size: 0
    .sgpr_count:     12
    .sgpr_spill_count: 0
    .symbol:         _ZN9rocsparseL19nnz_compress_kernelILi1024ELi32ELi32E21rocsparse_complex_numIdEEEvi21rocsparse_index_base_PKT2_PKiPiS4_.kd
    .uniform_work_group_size: 1
    .uses_dynamic_stack: false
    .vgpr_count:     21
    .vgpr_spill_count: 0
    .wavefront_size: 32
    .workgroup_processor_mode: 1
  - .args:
      - .offset:         0
        .size:           4
        .value_kind:     by_value
      - .offset:         4
        .size:           4
        .value_kind:     by_value
      - .actual_access:  read_only
        .address_space:  global
        .offset:         8
        .size:           8
        .value_kind:     global_buffer
      - .actual_access:  read_only
        .address_space:  global
        .offset:         16
        .size:           8
        .value_kind:     global_buffer
      - .actual_access:  write_only
        .address_space:  global
        .offset:         24
        .size:           8
        .value_kind:     global_buffer
      - .offset:         32
        .size:           16
        .value_kind:     by_value
    .group_segment_fixed_size: 0
    .kernarg_segment_align: 8
    .kernarg_segment_size: 48
    .language:       OpenCL C
    .language_version:
      - 2
      - 0
    .max_flat_workgroup_size: 1024
    .name:           _ZN9rocsparseL19nnz_compress_kernelILi1024ELi16ELi64E21rocsparse_complex_numIdEEEvi21rocsparse_index_base_PKT2_PKiPiS4_
    .private_segment_fixed_size: 0
    .sgpr_count:     12
    .sgpr_spill_count: 0
    .symbol:         _ZN9rocsparseL19nnz_compress_kernelILi1024ELi16ELi64E21rocsparse_complex_numIdEEEvi21rocsparse_index_base_PKT2_PKiPiS4_.kd
    .uniform_work_group_size: 1
    .uses_dynamic_stack: false
    .vgpr_count:     21
    .vgpr_spill_count: 0
    .wavefront_size: 32
    .workgroup_processor_mode: 1
amdhsa.target:   amdgcn-amd-amdhsa--gfx1030
amdhsa.version:
  - 1
  - 2
...

	.end_amdgpu_metadata
